;; amdgpu-corpus repo=ROCm/rocFFT kind=compiled arch=gfx950 opt=O3
	.text
	.amdgcn_target "amdgcn-amd-amdhsa--gfx950"
	.amdhsa_code_object_version 6
	.protected	fft_rtc_back_len3000_factors_10_3_10_10_wgs_100_tpt_100_halfLds_dp_op_CI_CI_unitstride_sbrr_dirReg ; -- Begin function fft_rtc_back_len3000_factors_10_3_10_10_wgs_100_tpt_100_halfLds_dp_op_CI_CI_unitstride_sbrr_dirReg
	.globl	fft_rtc_back_len3000_factors_10_3_10_10_wgs_100_tpt_100_halfLds_dp_op_CI_CI_unitstride_sbrr_dirReg
	.p2align	8
	.type	fft_rtc_back_len3000_factors_10_3_10_10_wgs_100_tpt_100_halfLds_dp_op_CI_CI_unitstride_sbrr_dirReg,@function
fft_rtc_back_len3000_factors_10_3_10_10_wgs_100_tpt_100_halfLds_dp_op_CI_CI_unitstride_sbrr_dirReg: ; @fft_rtc_back_len3000_factors_10_3_10_10_wgs_100_tpt_100_halfLds_dp_op_CI_CI_unitstride_sbrr_dirReg
; %bb.0:
	s_load_dwordx4 s[4:7], s[0:1], 0x58
	s_load_dwordx4 s[8:11], s[0:1], 0x0
	;; [unrolled: 1-line block ×3, first 2 shown]
	v_mul_u32_u24_e32 v1, 0x290, v0
	v_add_u32_sdwa v6, s2, v1 dst_sel:DWORD dst_unused:UNUSED_PAD src0_sel:DWORD src1_sel:WORD_1
	v_mov_b32_e32 v2, 0
	s_waitcnt lgkmcnt(0)
	v_cmp_lt_u64_e64 s[2:3], s[10:11], 2
	v_mov_b32_e32 v7, v2
	s_and_b64 vcc, exec, s[2:3]
	v_mov_b64_e32 v[4:5], 0
	s_cbranch_vccnz .LBB0_8
; %bb.1:
	s_load_dwordx2 s[2:3], s[0:1], 0x10
	s_add_u32 s16, s14, 8
	s_addc_u32 s17, s15, 0
	s_add_u32 s18, s12, 8
	s_addc_u32 s19, s13, 0
	s_waitcnt lgkmcnt(0)
	s_add_u32 s20, s2, 8
	v_mov_b64_e32 v[4:5], 0
	s_addc_u32 s21, s3, 0
	s_mov_b64 s[22:23], 1
	v_mov_b64_e32 v[172:173], v[4:5]
.LBB0_2:                                ; =>This Inner Loop Header: Depth=1
	s_load_dwordx2 s[24:25], s[20:21], 0x0
                                        ; implicit-def: $vgpr124_vgpr125
	s_waitcnt lgkmcnt(0)
	v_or_b32_e32 v3, s25, v7
	v_cmp_ne_u64_e32 vcc, 0, v[2:3]
	s_and_saveexec_b64 s[2:3], vcc
	s_xor_b64 s[26:27], exec, s[2:3]
	s_cbranch_execz .LBB0_4
; %bb.3:                                ;   in Loop: Header=BB0_2 Depth=1
	v_cvt_f32_u32_e32 v1, s24
	v_cvt_f32_u32_e32 v3, s25
	s_sub_u32 s2, 0, s24
	s_subb_u32 s3, 0, s25
	v_fmac_f32_e32 v1, 0x4f800000, v3
	v_rcp_f32_e32 v1, v1
	s_nop 0
	v_mul_f32_e32 v1, 0x5f7ffffc, v1
	v_mul_f32_e32 v3, 0x2f800000, v1
	v_trunc_f32_e32 v3, v3
	v_fmac_f32_e32 v1, 0xcf800000, v3
	v_cvt_u32_f32_e32 v3, v3
	v_cvt_u32_f32_e32 v1, v1
	v_mul_lo_u32 v8, s2, v3
	v_mul_hi_u32 v10, s2, v1
	v_mul_lo_u32 v9, s3, v1
	v_add_u32_e32 v10, v10, v8
	v_mul_lo_u32 v12, s2, v1
	v_add_u32_e32 v13, v10, v9
	v_mul_hi_u32 v8, v1, v12
	v_mul_hi_u32 v11, v1, v13
	v_mul_lo_u32 v10, v1, v13
	v_mov_b32_e32 v9, v2
	v_lshl_add_u64 v[8:9], v[8:9], 0, v[10:11]
	v_mul_hi_u32 v11, v3, v12
	v_mul_lo_u32 v12, v3, v12
	v_add_co_u32_e32 v8, vcc, v8, v12
	v_mul_hi_u32 v10, v3, v13
	s_nop 0
	v_addc_co_u32_e32 v8, vcc, v9, v11, vcc
	v_mov_b32_e32 v9, v2
	s_nop 0
	v_addc_co_u32_e32 v11, vcc, 0, v10, vcc
	v_mul_lo_u32 v10, v3, v13
	v_lshl_add_u64 v[8:9], v[8:9], 0, v[10:11]
	v_add_co_u32_e32 v1, vcc, v1, v8
	v_mul_lo_u32 v10, s2, v1
	s_nop 0
	v_addc_co_u32_e32 v3, vcc, v3, v9, vcc
	v_mul_lo_u32 v8, s2, v3
	v_mul_hi_u32 v9, s2, v1
	v_add_u32_e32 v8, v9, v8
	v_mul_lo_u32 v9, s3, v1
	v_add_u32_e32 v12, v8, v9
	v_mul_hi_u32 v14, v3, v10
	v_mul_lo_u32 v15, v3, v10
	v_mul_hi_u32 v9, v1, v12
	v_mul_lo_u32 v8, v1, v12
	v_mul_hi_u32 v10, v1, v10
	v_mov_b32_e32 v11, v2
	v_lshl_add_u64 v[8:9], v[10:11], 0, v[8:9]
	v_add_co_u32_e32 v8, vcc, v8, v15
	v_mul_hi_u32 v13, v3, v12
	s_nop 0
	v_addc_co_u32_e32 v8, vcc, v9, v14, vcc
	v_mul_lo_u32 v10, v3, v12
	s_nop 0
	v_addc_co_u32_e32 v11, vcc, 0, v13, vcc
	v_mov_b32_e32 v9, v2
	v_lshl_add_u64 v[8:9], v[8:9], 0, v[10:11]
	v_add_co_u32_e32 v1, vcc, v1, v8
	v_mul_hi_u32 v10, v6, v1
	s_nop 0
	v_addc_co_u32_e32 v3, vcc, v3, v9, vcc
	v_mad_u64_u32 v[8:9], s[2:3], v6, v3, 0
	v_mov_b32_e32 v11, v2
	v_lshl_add_u64 v[8:9], v[10:11], 0, v[8:9]
	v_mad_u64_u32 v[12:13], s[2:3], v7, v1, 0
	v_add_co_u32_e32 v1, vcc, v8, v12
	v_mad_u64_u32 v[10:11], s[2:3], v7, v3, 0
	s_nop 0
	v_addc_co_u32_e32 v8, vcc, v9, v13, vcc
	v_mov_b32_e32 v9, v2
	s_nop 0
	v_addc_co_u32_e32 v11, vcc, 0, v11, vcc
	v_lshl_add_u64 v[8:9], v[8:9], 0, v[10:11]
	v_mul_lo_u32 v1, s25, v8
	v_mul_lo_u32 v3, s24, v9
	v_mad_u64_u32 v[10:11], s[2:3], s24, v8, 0
	v_add3_u32 v1, v11, v3, v1
	v_sub_u32_e32 v3, v7, v1
	v_mov_b32_e32 v11, s25
	v_sub_co_u32_e32 v14, vcc, v6, v10
	v_lshl_add_u64 v[12:13], v[8:9], 0, 1
	s_nop 0
	v_subb_co_u32_e64 v3, s[2:3], v3, v11, vcc
	v_subrev_co_u32_e64 v10, s[2:3], s24, v14
	v_subb_co_u32_e32 v1, vcc, v7, v1, vcc
	s_nop 0
	v_subbrev_co_u32_e64 v3, s[2:3], 0, v3, s[2:3]
	v_cmp_le_u32_e64 s[2:3], s25, v3
	v_cmp_le_u32_e32 vcc, s25, v1
	s_nop 0
	v_cndmask_b32_e64 v11, 0, -1, s[2:3]
	v_cmp_le_u32_e64 s[2:3], s24, v10
	s_nop 1
	v_cndmask_b32_e64 v10, 0, -1, s[2:3]
	v_cmp_eq_u32_e64 s[2:3], s25, v3
	s_nop 1
	v_cndmask_b32_e64 v3, v11, v10, s[2:3]
	v_lshl_add_u64 v[10:11], v[8:9], 0, 2
	v_cmp_ne_u32_e64 s[2:3], 0, v3
	s_nop 1
	v_cndmask_b32_e64 v3, v13, v11, s[2:3]
	v_cndmask_b32_e64 v11, 0, -1, vcc
	v_cmp_le_u32_e32 vcc, s24, v14
	s_nop 1
	v_cndmask_b32_e64 v13, 0, -1, vcc
	v_cmp_eq_u32_e32 vcc, s25, v1
	s_nop 1
	v_cndmask_b32_e32 v1, v11, v13, vcc
	v_cmp_ne_u32_e32 vcc, 0, v1
	v_cndmask_b32_e64 v1, v12, v10, s[2:3]
	s_nop 0
	v_cndmask_b32_e32 v125, v9, v3, vcc
	v_cndmask_b32_e32 v124, v8, v1, vcc
.LBB0_4:                                ;   in Loop: Header=BB0_2 Depth=1
	s_andn2_saveexec_b64 s[2:3], s[26:27]
	s_cbranch_execz .LBB0_6
; %bb.5:                                ;   in Loop: Header=BB0_2 Depth=1
	v_cvt_f32_u32_e32 v1, s24
	s_sub_i32 s26, 0, s24
	v_mov_b32_e32 v125, v2
	v_rcp_iflag_f32_e32 v1, v1
	s_nop 0
	v_mul_f32_e32 v1, 0x4f7ffffe, v1
	v_cvt_u32_f32_e32 v1, v1
	v_mul_lo_u32 v3, s26, v1
	v_mul_hi_u32 v3, v1, v3
	v_add_u32_e32 v1, v1, v3
	v_mul_hi_u32 v1, v6, v1
	v_mul_lo_u32 v3, v1, s24
	v_sub_u32_e32 v3, v6, v3
	v_add_u32_e32 v8, 1, v1
	v_subrev_u32_e32 v9, s24, v3
	v_cmp_le_u32_e32 vcc, s24, v3
	s_nop 1
	v_cndmask_b32_e32 v3, v3, v9, vcc
	v_cndmask_b32_e32 v1, v1, v8, vcc
	v_add_u32_e32 v8, 1, v1
	v_cmp_le_u32_e32 vcc, s24, v3
	s_nop 1
	v_cndmask_b32_e32 v124, v1, v8, vcc
.LBB0_6:                                ;   in Loop: Header=BB0_2 Depth=1
	s_or_b64 exec, exec, s[2:3]
	v_mad_u64_u32 v[8:9], s[2:3], v124, s24, 0
	s_load_dwordx2 s[2:3], s[18:19], 0x0
	v_mul_lo_u32 v1, v125, s24
	v_mul_lo_u32 v3, v124, s25
	s_load_dwordx2 s[24:25], s[16:17], 0x0
	s_add_u32 s22, s22, 1
	v_add3_u32 v1, v9, v3, v1
	v_sub_co_u32_e32 v3, vcc, v6, v8
	s_addc_u32 s23, s23, 0
	s_nop 0
	v_subb_co_u32_e32 v1, vcc, v7, v1, vcc
	s_add_u32 s16, s16, 8
	s_waitcnt lgkmcnt(0)
	v_mul_lo_u32 v6, s2, v1
	v_mul_lo_u32 v7, s3, v3
	v_mad_u64_u32 v[4:5], s[2:3], s2, v3, v[4:5]
	s_addc_u32 s17, s17, 0
	v_add3_u32 v5, v7, v5, v6
	v_mul_lo_u32 v1, s24, v1
	v_mul_lo_u32 v6, s25, v3
	v_mad_u64_u32 v[172:173], s[2:3], s24, v3, v[172:173]
	s_add_u32 s18, s18, 8
	v_add3_u32 v173, v6, v173, v1
	s_addc_u32 s19, s19, 0
	v_mov_b64_e32 v[6:7], s[10:11]
	s_add_u32 s20, s20, 8
	v_cmp_ge_u64_e32 vcc, s[22:23], v[6:7]
	s_addc_u32 s21, s21, 0
	s_cbranch_vccnz .LBB0_9
; %bb.7:                                ;   in Loop: Header=BB0_2 Depth=1
	v_mov_b64_e32 v[6:7], v[124:125]
	s_branch .LBB0_2
.LBB0_8:
	v_mov_b64_e32 v[172:173], v[4:5]
	v_mov_b64_e32 v[124:125], v[6:7]
.LBB0_9:
	s_load_dwordx2 s[2:3], s[0:1], 0x28
	s_lshl_b64 s[10:11], s[10:11], 3
	s_add_u32 s22, s14, s10
	s_addc_u32 s23, s15, s11
                                        ; implicit-def: $vgpr184
	s_waitcnt lgkmcnt(0)
	v_cmp_gt_u64_e64 s[0:1], s[2:3], v[124:125]
	v_cmp_le_u64_e32 vcc, s[2:3], v[124:125]
	s_and_saveexec_b64 s[2:3], vcc
	s_xor_b64 s[2:3], exec, s[2:3]
; %bb.10:
	s_mov_b32 s14, 0x28f5c29
	v_mul_hi_u32 v1, v0, s14
	v_mul_u32_u24_e32 v1, 0x64, v1
	v_sub_u32_e32 v184, v0, v1
                                        ; implicit-def: $vgpr0
                                        ; implicit-def: $vgpr4_vgpr5
; %bb.11:
	s_or_saveexec_b64 s[2:3], s[2:3]
                                        ; implicit-def: $vgpr22_vgpr23
                                        ; implicit-def: $vgpr38_vgpr39
                                        ; implicit-def: $vgpr18_vgpr19
                                        ; implicit-def: $vgpr30_vgpr31
                                        ; implicit-def: $vgpr26_vgpr27
                                        ; implicit-def: $vgpr42_vgpr43
                                        ; implicit-def: $vgpr14_vgpr15
                                        ; implicit-def: $vgpr34_vgpr35
                                        ; implicit-def: $vgpr6_vgpr7
                                        ; implicit-def: $vgpr2_vgpr3
                                        ; implicit-def: $vgpr106_vgpr107
                                        ; implicit-def: $vgpr74_vgpr75
                                        ; implicit-def: $vgpr102_vgpr103
                                        ; implicit-def: $vgpr114_vgpr115
                                        ; implicit-def: $vgpr110_vgpr111
                                        ; implicit-def: $vgpr118_vgpr119
                                        ; implicit-def: $vgpr98_vgpr99
                                        ; implicit-def: $vgpr70_vgpr71
                                        ; implicit-def: $vgpr46_vgpr47
                                        ; implicit-def: $vgpr10_vgpr11
                                        ; implicit-def: $vgpr82_vgpr83
                                        ; implicit-def: $vgpr62_vgpr63
                                        ; implicit-def: $vgpr78_vgpr79
                                        ; implicit-def: $vgpr90_vgpr91
                                        ; implicit-def: $vgpr86_vgpr87
                                        ; implicit-def: $vgpr94_vgpr95
                                        ; implicit-def: $vgpr66_vgpr67
                                        ; implicit-def: $vgpr58_vgpr59
                                        ; implicit-def: $vgpr54_vgpr55
                                        ; implicit-def: $vgpr50_vgpr51
	s_xor_b64 exec, exec, s[2:3]
	s_cbranch_execz .LBB0_13
; %bb.12:
	s_add_u32 s10, s12, s10
	s_addc_u32 s11, s13, s11
	s_load_dwordx2 s[10:11], s[10:11], 0x0
	s_mov_b32 s12, 0x28f5c29
	s_waitcnt lgkmcnt(0)
	v_mul_lo_u32 v1, s11, v124
	v_mul_lo_u32 v6, s10, v125
	v_mad_u64_u32 v[2:3], s[10:11], s10, v124, 0
	v_add3_u32 v3, v3, v6, v1
	v_mul_hi_u32 v1, v0, s12
	v_mul_u32_u24_e32 v1, 0x64, v1
	v_sub_u32_e32 v184, v0, v1
	v_lshl_add_u64 v[0:1], v[2:3], 4, s[4:5]
	v_lshl_add_u64 v[0:1], v[4:5], 4, v[0:1]
	v_lshlrev_b32_e32 v2, 4, v184
	v_mov_b32_e32 v3, 0
	v_lshl_add_u64 v[12:13], v[0:1], 0, v[2:3]
	s_movk_i32 s4, 0x1000
	v_add_co_u32_e32 v14, vcc, s4, v12
	s_movk_i32 s4, 0x2000
	s_nop 0
	v_addc_co_u32_e32 v15, vcc, 0, v13, vcc
	v_add_co_u32_e32 v0, vcc, s4, v12
	s_movk_i32 s4, 0x3000
	s_nop 0
	v_addc_co_u32_e32 v1, vcc, 0, v13, vcc
	;; [unrolled: 4-line block ×5, first 2 shown]
	v_add_co_u32_e32 v26, vcc, s4, v12
	s_mov_b32 s4, 0x8000
	s_nop 0
	v_addc_co_u32_e32 v27, vcc, 0, v13, vcc
	v_add_co_u32_e32 v36, vcc, s4, v12
	s_mov_b32 s4, 0x9000
	s_nop 0
	v_addc_co_u32_e32 v37, vcc, 0, v13, vcc
	;; [unrolled: 4-line block ×3, first 2 shown]
	v_add_co_u32_e32 v120, vcc, s4, v12
	s_movk_i32 s4, 0x6000
	s_nop 0
	v_addc_co_u32_e32 v121, vcc, 0, v13, vcc
	v_add_co_u32_e32 v122, vcc, s4, v12
	global_load_dwordx4 v[48:51], v[12:13], off
	global_load_dwordx4 v[8:11], v[12:13], off offset:1600
	global_load_dwordx4 v[56:59], v[0:1], off offset:1408
	;; [unrolled: 1-line block ×3, first 2 shown]
	v_addc_co_u32_e32 v123, vcc, 0, v13, vcc
	v_add_co_u32_e32 v126, vcc, 0xb000, v12
	global_load_dwordx4 v[60:63], v[16:17], off offset:1536
	global_load_dwordx4 v[72:75], v[16:17], off offset:3136
	;; [unrolled: 1-line block ×6, first 2 shown]
	v_addc_co_u32_e32 v127, vcc, 0, v13, vcc
	global_load_dwordx4 v[64:67], v[20:21], off offset:2112
	global_load_dwordx4 v[32:35], v[20:21], off offset:512
	;; [unrolled: 1-line block ×15, first 2 shown]
                                        ; kill: killed $vgpr36 killed $vgpr37
                                        ; kill: killed $vgpr26 killed $vgpr27
                                        ; kill: killed $vgpr24 killed $vgpr25
                                        ; kill: killed $vgpr22 killed $vgpr23
                                        ; kill: killed $vgpr20 killed $vgpr21
	s_nop 0
	global_load_dwordx4 v[36:39], v[120:121], off offset:640
	global_load_dwordx4 v[104:107], v[120:121], off offset:3840
	;; [unrolled: 1-line block ×4, first 2 shown]
                                        ; kill: killed $vgpr120 killed $vgpr121
                                        ; kill: killed $vgpr122 killed $vgpr123
	global_load_dwordx4 v[20:23], v[126:127], off offset:1344
.LBB0_13:
	s_or_b64 exec, exec, s[2:3]
	s_waitcnt vmcnt(27)
	v_add_f64 v[120:121], v[56:57], v[48:49]
	v_add_f64 v[122:123], v[58:59], v[50:51]
	s_waitcnt vmcnt(15)
	v_add_f64 v[120:121], v[92:93], v[120:121]
	v_add_f64 v[122:123], v[94:95], v[122:123]
	v_add_f64 v[130:131], v[56:57], -v[92:93]
	v_add_f64 v[132:133], v[92:93], -v[56:57]
	v_add_f64 v[140:141], v[60:61], v[56:57]
	v_add_f64 v[142:143], v[56:57], -v[60:61]
	s_waitcnt vmcnt(11)
	v_add_f64 v[56:57], v[88:89], v[120:121]
	v_add_f64 v[120:121], v[90:91], v[122:123]
	;; [unrolled: 1-line block ×3, first 2 shown]
	v_add_f64 v[92:93], v[92:93], -v[88:89]
	v_add_f64 v[122:123], v[60:61], -v[88:89]
	;; [unrolled: 1-line block ×3, first 2 shown]
	v_add_f64 v[56:57], v[60:61], v[56:57]
	v_add_f64 v[60:61], v[62:63], v[120:121]
	;; [unrolled: 1-line block ×3, first 2 shown]
	v_add_f64 v[128:129], v[94:95], -v[90:91]
	v_add_f64 v[134:135], v[90:91], v[94:95]
	v_add_f64 v[136:137], v[58:59], -v[94:95]
	v_add_f64 v[94:95], v[94:95], -v[58:59]
	;; [unrolled: 1-line block ×3, first 2 shown]
	v_add_f64 v[58:59], v[62:63], v[58:59]
	v_add_f64 v[144:145], v[62:63], -v[90:91]
	v_add_f64 v[90:91], v[90:91], -v[62:63]
	v_add_f64 v[62:63], v[64:65], v[52:53]
	v_add_f64 v[120:121], v[86:87], v[120:121]
	;; [unrolled: 1-line block ×3, first 2 shown]
	s_waitcnt vmcnt(8)
	v_add_f64 v[148:149], v[86:87], -v[78:79]
	v_add_f64 v[154:155], v[78:79], v[86:87]
	v_add_f64 v[156:157], v[66:67], -v[86:87]
	v_add_f64 v[86:87], v[86:87], -v[66:67]
	s_waitcnt vmcnt(5)
	v_add_f64 v[158:159], v[66:67], -v[82:83]
	v_add_f64 v[66:67], v[82:83], v[66:67]
	v_add_f64 v[120:121], v[78:79], v[120:121]
	s_mov_b32 s10, 0x134454ff
	v_add_f64 v[146:147], v[76:77], v[84:85]
	v_add_f64 v[150:151], v[64:65], -v[84:85]
	v_add_f64 v[152:153], v[84:85], -v[64:65]
	;; [unrolled: 1-line block ×3, first 2 shown]
	v_add_f64 v[160:161], v[80:81], v[64:65]
	v_add_f64 v[62:63], v[76:77], v[62:63]
	v_add_f64 v[164:165], v[82:83], -v[78:79]
	v_add_f64 v[78:79], v[78:79], -v[82:83]
	v_add_f64 v[120:121], v[82:83], v[120:121]
	v_fma_f64 v[82:83], -0.5, v[154:155], v[54:55]
	v_fmac_f64_e32 v[54:55], -0.5, v[66:67]
	s_mov_b32 s11, 0xbfee6f0e
	s_mov_b32 s2, 0x4755a5e
	;; [unrolled: 1-line block ×4, first 2 shown]
	v_add_f64 v[64:65], v[64:65], -v[80:81]
	v_add_f64 v[162:163], v[80:81], -v[76:77]
	;; [unrolled: 1-line block ×3, first 2 shown]
	v_add_f64 v[62:63], v[80:81], v[62:63]
	v_fma_f64 v[80:81], -0.5, v[146:147], v[52:53]
	v_fmac_f64_e32 v[52:53], -0.5, v[160:161]
	v_add_f64 v[66:67], v[78:79], v[86:87]
	s_mov_b32 s3, 0xbfe2cf23
	s_mov_b32 s4, 0x372fe950
	v_fma_f64 v[86:87], s[10:11], v[84:85], v[54:55]
	v_fmac_f64_e32 v[54:55], s[12:13], v[84:85]
	s_mov_b32 s5, 0x3fd3c6ef
	s_mov_b32 s15, 0x3fe2cf23
	;; [unrolled: 1-line block ×3, first 2 shown]
	v_fma_f64 v[78:79], s[12:13], v[148:149], v[52:53]
	v_fmac_f64_e32 v[52:53], s[10:11], v[148:149]
	v_fmac_f64_e32 v[54:55], s[2:3], v[64:65]
	v_add_f64 v[76:77], v[76:77], v[152:153]
	v_fmac_f64_e32 v[52:53], s[14:15], v[158:159]
	v_fmac_f64_e32 v[54:55], s[4:5], v[66:67]
	s_mov_b32 s17, 0xbfd3c6ef
	s_mov_b32 s16, s4
	v_fmac_f64_e32 v[52:53], s[4:5], v[76:77]
	v_mul_f64 v[146:147], v[54:55], s[10:11]
	v_mul_f64 v[152:153], v[54:55], s[16:17]
	v_fma_f64 v[54:55], -0.5, v[126:127], v[48:49]
	v_fmac_f64_e32 v[146:147], s[16:17], v[52:53]
	v_fmac_f64_e32 v[152:153], s[12:13], v[52:53]
	v_add_f64 v[52:53], v[122:123], v[130:131]
	v_fma_f64 v[122:123], s[10:11], v[138:139], v[54:55]
	v_fmac_f64_e32 v[54:55], s[12:13], v[138:139]
	v_fmac_f64_e32 v[122:123], s[2:3], v[128:129]
	;; [unrolled: 1-line block ×3, first 2 shown]
	v_fmac_f64_e32 v[48:49], -0.5, v[140:141]
	v_fmac_f64_e32 v[122:123], s[4:5], v[52:53]
	v_fmac_f64_e32 v[54:55], s[4:5], v[52:53]
	v_add_f64 v[52:53], v[88:89], v[132:133]
	v_fma_f64 v[88:89], s[12:13], v[128:129], v[48:49]
	v_fmac_f64_e32 v[48:49], s[10:11], v[128:129]
	v_fma_f64 v[126:127], -0.5, v[134:135], v[50:51]
	v_fmac_f64_e32 v[88:89], s[2:3], v[138:139]
	v_fmac_f64_e32 v[48:49], s[14:15], v[138:139]
	v_fma_f64 v[128:129], s[12:13], v[142:143], v[126:127]
	v_fmac_f64_e32 v[126:127], s[10:11], v[142:143]
	v_fmac_f64_e32 v[50:51], -0.5, v[58:59]
	v_fmac_f64_e32 v[88:89], s[4:5], v[52:53]
	v_fmac_f64_e32 v[48:49], s[4:5], v[52:53]
	v_add_f64 v[52:53], v[144:145], v[136:137]
	v_fmac_f64_e32 v[128:129], s[14:15], v[92:93]
	v_fmac_f64_e32 v[126:127], s[2:3], v[92:93]
	v_fma_f64 v[58:59], s[10:11], v[92:93], v[50:51]
	v_fmac_f64_e32 v[50:51], s[12:13], v[92:93]
	v_fmac_f64_e32 v[128:129], s[4:5], v[52:53]
	;; [unrolled: 1-line block ×3, first 2 shown]
	v_add_f64 v[52:53], v[90:91], v[94:95]
	v_fmac_f64_e32 v[58:59], s[14:15], v[142:143]
	v_fmac_f64_e32 v[50:51], s[2:3], v[142:143]
	v_fma_f64 v[90:91], s[10:11], v[158:159], v[80:81]
	v_fmac_f64_e32 v[80:81], s[12:13], v[158:159]
	v_fmac_f64_e32 v[78:79], s[2:3], v[158:159]
	;; [unrolled: 1-line block ×4, first 2 shown]
	v_add_f64 v[52:53], v[162:163], v[150:151]
	v_fmac_f64_e32 v[90:91], s[2:3], v[148:149]
	v_fmac_f64_e32 v[80:81], s[14:15], v[148:149]
	;; [unrolled: 1-line block ×3, first 2 shown]
	v_fma_f64 v[76:77], s[12:13], v[64:65], v[82:83]
	v_fmac_f64_e32 v[82:83], s[10:11], v[64:65]
	v_fmac_f64_e32 v[86:87], s[14:15], v[64:65]
	;; [unrolled: 1-line block ×4, first 2 shown]
	v_add_f64 v[52:53], v[164:165], v[156:157]
	v_fmac_f64_e32 v[76:77], s[14:15], v[84:85]
	v_fmac_f64_e32 v[82:83], s[2:3], v[84:85]
	;; [unrolled: 1-line block ×3, first 2 shown]
	s_mov_b32 s18, 0x9b97f4a8
	v_fmac_f64_e32 v[76:77], s[4:5], v[52:53]
	v_fmac_f64_e32 v[82:83], s[4:5], v[52:53]
	s_mov_b32 s19, 0x3fe9e377
	v_mul_f64 v[64:65], v[90:91], s[14:15]
	v_mul_f64 v[66:67], v[86:87], s[10:11]
	s_mov_b32 s21, 0xbfe9e377
	s_mov_b32 s20, s18
	v_mul_f64 v[52:53], v[76:77], s[2:3]
	v_fmac_f64_e32 v[64:65], s[18:19], v[76:77]
	v_fmac_f64_e32 v[66:67], s[4:5], v[78:79]
	v_mul_f64 v[84:85], v[82:83], s[2:3]
	v_mul_f64 v[132:133], v[82:83], s[20:21]
	v_fmac_f64_e32 v[52:53], s[18:19], v[90:91]
	v_mul_f64 v[130:131], v[78:79], s[12:13]
	v_fmac_f64_e32 v[84:85], s[20:21], v[80:81]
	v_fmac_f64_e32 v[132:133], s[14:15], v[80:81]
	v_add_f64 v[80:81], v[62:63], v[56:57]
	v_add_f64 v[78:79], v[88:89], -v[66:67]
	v_add_f64 v[92:93], v[88:89], v[66:67]
	v_add_f64 v[90:91], v[56:57], -v[62:63]
	v_add_f64 v[56:57], v[128:129], -v[64:65]
	v_add_f64 v[66:67], v[128:129], v[64:65]
	v_add_f64 v[64:65], v[120:121], v[60:61]
	v_add_f64 v[62:63], v[60:61], -v[120:121]
	v_add_f64 v[120:121], v[68:69], v[8:9]
	v_add_f64 v[82:83], v[122:123], v[52:53]
	;; [unrolled: 3-line block ×3, first 2 shown]
	v_add_f64 v[122:123], v[118:119], v[122:123]
	v_add_f64 v[120:121], v[112:113], v[120:121]
	v_fmac_f64_e32 v[130:131], s[4:5], v[86:87]
	v_add_f64 v[94:95], v[48:49], v[146:147]
	v_add_f64 v[88:89], v[54:55], v[84:85]
	v_add_f64 v[86:87], v[54:55], -v[84:85]
	v_add_f64 v[84:85], v[48:49], -v[146:147]
	v_add_f64 v[54:55], v[50:51], v[152:153]
	v_add_f64 v[48:49], v[50:51], -v[152:153]
	v_add_f64 v[60:61], v[126:127], v[132:133]
	;; [unrolled: 2-line block ×3, first 2 shown]
	v_add_f64 v[132:133], v[68:69], -v[116:117]
	v_add_f64 v[134:135], v[116:117], -v[68:69]
	;; [unrolled: 1-line block ×3, first 2 shown]
	v_add_f64 v[142:143], v[72:73], v[68:69]
	v_add_f64 v[68:69], v[68:69], -v[72:73]
	v_add_f64 v[122:123], v[114:115], v[122:123]
	v_add_f64 v[144:145], v[72:73], -v[112:113]
	v_add_f64 v[112:113], v[112:113], -v[72:73]
	v_add_f64 v[72:73], v[72:73], v[120:121]
	v_add_f64 v[120:121], v[98:99], v[46:47]
	v_add_f64 v[52:53], v[58:59], v[130:131]
	v_add_f64 v[58:59], v[58:59], -v[130:131]
	v_add_f64 v[130:131], v[118:119], -v[114:115]
	v_add_f64 v[136:137], v[114:115], v[118:119]
	v_add_f64 v[138:139], v[70:71], -v[118:119]
	v_add_f64 v[118:119], v[118:119], -v[70:71]
	;; [unrolled: 1-line block ×3, first 2 shown]
	v_add_f64 v[70:71], v[74:75], v[70:71]
	v_add_f64 v[146:147], v[74:75], -v[114:115]
	v_add_f64 v[114:115], v[114:115], -v[74:75]
	v_add_f64 v[126:127], v[74:75], v[122:123]
	v_add_f64 v[74:75], v[96:97], v[44:45]
	s_waitcnt vmcnt(2)
	v_add_f64 v[120:121], v[110:111], v[120:121]
	v_add_f64 v[74:75], v[108:109], v[74:75]
	v_add_f64 v[148:149], v[110:111], -v[102:103]
	v_add_f64 v[154:155], v[102:103], v[110:111]
	v_add_f64 v[156:157], v[98:99], -v[110:111]
	v_add_f64 v[110:111], v[110:111], -v[98:99]
	;; [unrolled: 1-line block ×3, first 2 shown]
	v_add_f64 v[98:99], v[106:107], v[98:99]
	v_add_f64 v[120:121], v[102:103], v[120:121]
	;; [unrolled: 1-line block ×3, first 2 shown]
	v_add_f64 v[150:151], v[96:97], -v[108:109]
	v_add_f64 v[152:153], v[108:109], -v[96:97]
	;; [unrolled: 1-line block ×3, first 2 shown]
	v_add_f64 v[160:161], v[104:105], v[96:97]
	v_add_f64 v[74:75], v[100:101], v[74:75]
	v_add_f64 v[164:165], v[106:107], -v[102:103]
	v_add_f64 v[102:103], v[102:103], -v[106:107]
	v_add_f64 v[166:167], v[106:107], v[120:121]
	v_fma_f64 v[106:107], -0.5, v[154:155], v[46:47]
	v_fmac_f64_e32 v[46:47], -0.5, v[98:99]
	v_add_f64 v[96:97], v[96:97], -v[104:105]
	v_add_f64 v[162:163], v[104:105], -v[100:101]
	;; [unrolled: 1-line block ×3, first 2 shown]
	v_add_f64 v[74:75], v[104:105], v[74:75]
	v_fma_f64 v[104:105], -0.5, v[122:123], v[44:45]
	v_fmac_f64_e32 v[44:45], -0.5, v[160:161]
	v_add_f64 v[98:99], v[102:103], v[110:111]
	v_fma_f64 v[110:111], s[10:11], v[108:109], v[46:47]
	v_fmac_f64_e32 v[46:47], s[12:13], v[108:109]
	v_fma_f64 v[102:103], s[12:13], v[148:149], v[44:45]
	v_fmac_f64_e32 v[44:45], s[10:11], v[148:149]
	v_fmac_f64_e32 v[46:47], s[2:3], v[96:97]
	v_add_f64 v[100:101], v[100:101], v[152:153]
	v_fmac_f64_e32 v[44:45], s[14:15], v[158:159]
	v_fmac_f64_e32 v[46:47], s[4:5], v[98:99]
	v_fma_f64 v[128:129], -0.5, v[128:129], v[8:9]
	v_fmac_f64_e32 v[44:45], s[4:5], v[100:101]
	v_mul_f64 v[152:153], v[46:47], s[10:11]
	v_mul_f64 v[46:47], v[46:47], s[16:17]
	v_fma_f64 v[120:121], s[10:11], v[140:141], v[128:129]
	v_fmac_f64_e32 v[128:129], s[12:13], v[140:141]
	v_fmac_f64_e32 v[152:153], s[16:17], v[44:45]
	;; [unrolled: 1-line block ×3, first 2 shown]
	v_add_f64 v[44:45], v[144:145], v[132:133]
	v_fmac_f64_e32 v[120:121], s[2:3], v[130:131]
	v_fmac_f64_e32 v[128:129], s[14:15], v[130:131]
	v_fmac_f64_e32 v[8:9], -0.5, v[142:143]
	v_fmac_f64_e32 v[120:121], s[4:5], v[44:45]
	v_fmac_f64_e32 v[128:129], s[4:5], v[44:45]
	v_add_f64 v[44:45], v[112:113], v[134:135]
	v_fma_f64 v[112:113], s[12:13], v[130:131], v[8:9]
	v_fmac_f64_e32 v[8:9], s[10:11], v[130:131]
	v_fma_f64 v[130:131], -0.5, v[136:137], v[10:11]
	v_fmac_f64_e32 v[112:113], s[2:3], v[140:141]
	v_fmac_f64_e32 v[8:9], s[14:15], v[140:141]
	v_fma_f64 v[132:133], s[12:13], v[68:69], v[130:131]
	v_fmac_f64_e32 v[130:131], s[10:11], v[68:69]
	v_fmac_f64_e32 v[10:11], -0.5, v[70:71]
	v_fmac_f64_e32 v[112:113], s[4:5], v[44:45]
	v_fmac_f64_e32 v[8:9], s[4:5], v[44:45]
	v_add_f64 v[44:45], v[146:147], v[138:139]
	v_fmac_f64_e32 v[132:133], s[14:15], v[116:117]
	v_fmac_f64_e32 v[130:131], s[2:3], v[116:117]
	v_fma_f64 v[134:135], s[10:11], v[116:117], v[10:11]
	v_fmac_f64_e32 v[10:11], s[12:13], v[116:117]
	v_fmac_f64_e32 v[132:133], s[4:5], v[44:45]
	v_fmac_f64_e32 v[130:131], s[4:5], v[44:45]
	v_add_f64 v[44:45], v[114:115], v[118:119]
	v_fmac_f64_e32 v[134:135], s[14:15], v[68:69]
	v_fmac_f64_e32 v[10:11], s[2:3], v[68:69]
	v_fma_f64 v[68:69], s[10:11], v[158:159], v[104:105]
	v_fmac_f64_e32 v[104:105], s[12:13], v[158:159]
	;; [unrolled: 7-line block ×3, first 2 shown]
	v_fmac_f64_e32 v[104:105], s[4:5], v[44:45]
	v_add_f64 v[44:45], v[164:165], v[156:157]
	v_fmac_f64_e32 v[70:71], s[14:15], v[108:109]
	v_fmac_f64_e32 v[106:107], s[10:11], v[96:97]
	;; [unrolled: 1-line block ×8, first 2 shown]
	v_mul_f64 v[44:45], v[70:71], s[2:3]
	v_mul_f64 v[96:97], v[68:69], s[14:15]
	v_fmac_f64_e32 v[102:103], s[4:5], v[100:101]
	v_fmac_f64_e32 v[44:45], s[18:19], v[68:69]
	;; [unrolled: 1-line block ×3, first 2 shown]
	v_mul_f64 v[68:69], v[110:111], s[10:11]
	v_mul_f64 v[70:71], v[106:107], s[2:3]
	v_fmac_f64_e32 v[68:69], s[4:5], v[102:103]
	v_mul_f64 v[98:99], v[102:103], s[12:13]
	v_fmac_f64_e32 v[70:71], s[20:21], v[104:105]
	;; [unrolled: 2-line block ×3, first 2 shown]
	v_fmac_f64_e32 v[136:137], s[14:15], v[104:105]
	v_add_f64 v[110:111], v[120:121], v[44:45]
	v_add_f64 v[104:105], v[120:121], -v[44:45]
	v_add_f64 v[106:107], v[112:113], -v[68:69]
	v_add_f64 v[120:121], v[112:113], v[68:69]
	v_add_f64 v[122:123], v[8:9], v[152:153]
	;; [unrolled: 1-line block ×3, first 2 shown]
	v_add_f64 v[114:115], v[128:129], -v[70:71]
	v_add_f64 v[112:113], v[8:9], -v[152:153]
	v_add_f64 v[70:71], v[10:11], v[46:47]
	v_add_f64 v[44:45], v[10:11], -v[46:47]
	v_add_f64 v[8:9], v[32:33], v[0:1]
	v_add_f64 v[10:11], v[34:35], v[2:3]
	;; [unrolled: 1-line block ×7, first 2 shown]
	v_add_f64 v[118:119], v[72:73], -v[74:75]
	v_add_f64 v[68:69], v[134:135], v[98:99]
	v_add_f64 v[74:75], v[134:135], -v[98:99]
	v_add_f64 v[72:73], v[132:133], -v[96:97]
	v_add_f64 v[102:103], v[132:133], v[96:97]
	v_add_f64 v[100:101], v[166:167], v[126:127]
	v_add_f64 v[98:99], v[126:127], -v[166:167]
	v_add_f64 v[96:97], v[130:131], v[136:137]
	v_add_f64 v[46:47], v[130:131], -v[136:137]
	;; [unrolled: 2-line block ×3, first 2 shown]
	v_add_f64 v[130:131], v[32:33], -v[40:41]
	v_add_f64 v[132:133], v[40:41], -v[32:33]
	v_add_f64 v[134:135], v[30:31], v[42:43]
	v_add_f64 v[40:41], v[40:41], -v[28:29]
	v_add_f64 v[136:137], v[34:35], -v[42:43]
	;; [unrolled: 1-line block ×4, first 2 shown]
	v_add_f64 v[140:141], v[36:37], v[32:33]
	v_add_f64 v[32:33], v[32:33], -v[36:37]
	v_add_f64 v[34:35], v[38:39], v[34:35]
	v_add_f64 v[142:143], v[36:37], -v[28:29]
	v_add_f64 v[28:29], v[28:29], -v[36:37]
	;; [unrolled: 1-line block ×4, first 2 shown]
	v_add_f64 v[36:37], v[36:37], v[8:9]
	v_add_f64 v[8:9], v[38:39], v[10:11]
	;; [unrolled: 1-line block ×4, first 2 shown]
	s_waitcnt vmcnt(1)
	v_add_f64 v[38:39], v[26:27], v[38:39]
	v_add_f64 v[10:11], v[24:25], v[10:11]
	v_add_f64 v[148:149], v[26:27], -v[18:19]
	v_add_f64 v[154:155], v[18:19], v[26:27]
	v_add_f64 v[156:157], v[14:15], -v[26:27]
	v_add_f64 v[26:27], v[26:27], -v[14:15]
	s_waitcnt vmcnt(0)
	v_add_f64 v[158:159], v[14:15], -v[22:23]
	v_add_f64 v[14:15], v[22:23], v[14:15]
	v_add_f64 v[38:39], v[18:19], v[38:39]
	;; [unrolled: 1-line block ×3, first 2 shown]
	v_add_f64 v[150:151], v[12:13], -v[24:25]
	v_add_f64 v[152:153], v[24:25], -v[12:13]
	;; [unrolled: 1-line block ×3, first 2 shown]
	v_add_f64 v[160:161], v[20:21], v[12:13]
	v_add_f64 v[10:11], v[16:17], v[10:11]
	v_add_f64 v[164:165], v[22:23], -v[18:19]
	v_add_f64 v[18:19], v[18:19], -v[22:23]
	v_add_f64 v[38:39], v[22:23], v[38:39]
	v_fma_f64 v[22:23], -0.5, v[154:155], v[6:7]
	v_fmac_f64_e32 v[6:7], -0.5, v[14:15]
	v_add_f64 v[12:13], v[12:13], -v[20:21]
	v_add_f64 v[162:163], v[20:21], -v[16:17]
	;; [unrolled: 1-line block ×3, first 2 shown]
	v_add_f64 v[20:21], v[20:21], v[10:11]
	v_fma_f64 v[10:11], -0.5, v[146:147], v[4:5]
	v_fmac_f64_e32 v[4:5], -0.5, v[160:161]
	v_add_f64 v[14:15], v[18:19], v[26:27]
	v_fma_f64 v[26:27], s[10:11], v[24:25], v[6:7]
	v_fmac_f64_e32 v[6:7], s[12:13], v[24:25]
	v_fma_f64 v[18:19], s[12:13], v[148:149], v[4:5]
	v_fmac_f64_e32 v[4:5], s[10:11], v[148:149]
	v_fmac_f64_e32 v[6:7], s[2:3], v[12:13]
	v_add_f64 v[16:17], v[16:17], v[152:153]
	v_fmac_f64_e32 v[4:5], s[14:15], v[158:159]
	v_fmac_f64_e32 v[6:7], s[4:5], v[14:15]
	;; [unrolled: 1-line block ×3, first 2 shown]
	v_mul_f64 v[146:147], v[6:7], s[10:11]
	v_mul_f64 v[152:153], v[6:7], s[16:17]
	v_fma_f64 v[126:127], -0.5, v[126:127], v[0:1]
	v_fmac_f64_e32 v[146:147], s[16:17], v[4:5]
	v_fmac_f64_e32 v[152:153], s[12:13], v[4:5]
	v_add_f64 v[4:5], v[142:143], v[130:131]
	v_fma_f64 v[130:131], s[10:11], v[138:139], v[126:127]
	v_fmac_f64_e32 v[126:127], s[12:13], v[138:139]
	v_fmac_f64_e32 v[130:131], s[2:3], v[128:129]
	;; [unrolled: 1-line block ×3, first 2 shown]
	v_fmac_f64_e32 v[0:1], -0.5, v[140:141]
	v_fmac_f64_e32 v[130:131], s[4:5], v[4:5]
	v_fmac_f64_e32 v[126:127], s[4:5], v[4:5]
	v_add_f64 v[4:5], v[28:29], v[132:133]
	v_fma_f64 v[28:29], s[12:13], v[128:129], v[0:1]
	v_fmac_f64_e32 v[0:1], s[10:11], v[128:129]
	v_fma_f64 v[134:135], -0.5, v[134:135], v[2:3]
	v_fmac_f64_e32 v[28:29], s[2:3], v[138:139]
	v_fmac_f64_e32 v[0:1], s[14:15], v[138:139]
	v_fma_f64 v[140:141], s[12:13], v[32:33], v[134:135]
	v_fmac_f64_e32 v[134:135], s[10:11], v[32:33]
	v_fmac_f64_e32 v[28:29], s[4:5], v[4:5]
	;; [unrolled: 1-line block ×3, first 2 shown]
	v_add_f64 v[4:5], v[144:145], v[136:137]
	v_fmac_f64_e32 v[140:141], s[14:15], v[40:41]
	v_fmac_f64_e32 v[134:135], s[2:3], v[40:41]
	v_fmac_f64_e32 v[2:3], -0.5, v[34:35]
	v_fmac_f64_e32 v[140:141], s[4:5], v[4:5]
	v_fmac_f64_e32 v[134:135], s[4:5], v[4:5]
	v_add_f64 v[4:5], v[30:31], v[42:43]
	v_fma_f64 v[30:31], s[10:11], v[40:41], v[2:3]
	v_fmac_f64_e32 v[2:3], s[12:13], v[40:41]
	v_fmac_f64_e32 v[30:31], s[14:15], v[32:33]
	;; [unrolled: 1-line block ×3, first 2 shown]
	v_fma_f64 v[6:7], s[10:11], v[158:159], v[10:11]
	v_fmac_f64_e32 v[10:11], s[12:13], v[158:159]
	v_fmac_f64_e32 v[18:19], s[2:3], v[158:159]
	;; [unrolled: 1-line block ×4, first 2 shown]
	v_add_f64 v[4:5], v[162:163], v[150:151]
	v_fmac_f64_e32 v[6:7], s[2:3], v[148:149]
	v_fmac_f64_e32 v[10:11], s[14:15], v[148:149]
	;; [unrolled: 1-line block ×3, first 2 shown]
	v_fma_f64 v[16:17], s[12:13], v[12:13], v[22:23]
	v_fmac_f64_e32 v[22:23], s[10:11], v[12:13]
	v_fmac_f64_e32 v[6:7], s[4:5], v[4:5]
	;; [unrolled: 1-line block ×3, first 2 shown]
	v_add_f64 v[4:5], v[164:165], v[156:157]
	v_fmac_f64_e32 v[16:17], s[14:15], v[24:25]
	v_fmac_f64_e32 v[22:23], s[2:3], v[24:25]
	;; [unrolled: 1-line block ×6, first 2 shown]
	v_mul_f64 v[32:33], v[6:7], s[14:15]
	v_mul_f64 v[34:35], v[18:19], s[12:13]
	;; [unrolled: 1-line block ×3, first 2 shown]
	v_fmac_f64_e32 v[32:33], s[18:19], v[16:17]
	v_mul_f64 v[14:15], v[26:27], s[10:11]
	v_fmac_f64_e32 v[34:35], s[4:5], v[26:27]
	v_mul_f64 v[24:25], v[22:23], s[2:3]
	v_mul_f64 v[26:27], v[22:23], s[20:21]
	v_add_f64 v[16:17], v[0:1], v[146:147]
	v_add_f64 v[22:23], v[0:1], -v[146:147]
	v_mul_u32_u24_e32 v0, 10, v184
	v_add_u32_e32 v164, 0xc8, v184
	v_lshl_add_u32 v148, v0, 3, 0
	v_mul_u32_u24_e32 v0, 10, v164
	s_movk_i32 s24, 0xffb8
	v_fmac_f64_e32 v[12:13], s[18:19], v[6:7]
	v_fmac_f64_e32 v[14:15], s[4:5], v[18:19]
	;; [unrolled: 1-line block ×3, first 2 shown]
	s_load_dwordx2 s[22:23], s[22:23], 0x0
	ds_write_b128 v148, v[80:83]
	ds_write_b128 v148, v[92:95] offset:16
	ds_write_b128 v148, v[88:91] offset:32
	ds_write_b128 v148, v[76:79] offset:48
	ds_write_b128 v148, v[84:87] offset:64
	ds_write_b128 v148, v[108:111] offset:8000
	ds_write_b128 v148, v[120:123] offset:8016
	ds_write_b128 v148, v[116:119] offset:8032
	ds_write_b128 v148, v[104:107] offset:8048
	ds_write_b128 v148, v[112:115] offset:8064
	v_add_u32_e32 v76, 0x12c, v184
	v_lshl_add_u32 v163, v0, 3, 0
	v_mad_i32_i24 v188, v184, s24, v148
	v_add_u32_e32 v77, 0x190, v184
	v_fmac_f64_e32 v[26:27], s[14:15], v[10:11]
	v_add_f64 v[4:5], v[20:21], v[36:37]
	v_add_f64 v[6:7], v[130:131], v[12:13]
	v_add_f64 v[10:11], v[130:131], -v[12:13]
	v_add_f64 v[12:13], v[28:29], -v[14:15]
	v_add_f64 v[14:15], v[28:29], v[14:15]
	v_add_f64 v[20:21], v[36:37], -v[20:21]
	v_add_f64 v[18:19], v[126:127], v[24:25]
	v_add_f64 v[24:25], v[126:127], -v[24:25]
	v_add_u32_e32 v166, 0x1c00, v188
	v_add_u32_e32 v167, 0x3c00, v188
	v_mad_i32_i24 v174, v164, s24, v163
	v_add_u32_e32 v168, 0x2400, v188
	v_add_u32_e32 v165, 0x4000, v188
	v_lshl_add_u32 v185, v76, 3, 0
	v_add_u32_e32 v80, 0x1f4, v184
	v_lshl_add_u32 v122, v77, 3, 0
	v_add_u32_e32 v118, 0x2bc, v184
	v_add_u32_e32 v119, 0x258, v184
	;; [unrolled: 1-line block ×4, first 2 shown]
	s_movk_i32 s24, 0xcd
	v_add_f64 v[130:131], v[2:3], v[152:153]
	v_add_f64 v[132:133], v[2:3], -v[152:153]
	v_add_f64 v[128:129], v[30:31], v[34:35]
	v_add_f64 v[138:139], v[30:31], -v[34:35]
	v_add_f64 v[136:137], v[140:141], -v[32:33]
	v_add_f64 v[142:143], v[140:141], v[32:33]
	v_add_f64 v[140:141], v[38:39], v[8:9]
	v_add_f64 v[146:147], v[8:9], -v[38:39]
	v_add_f64 v[144:145], v[134:135], v[26:27]
	v_add_f64 v[134:135], v[134:135], -v[26:27]
	ds_write_b128 v163, v[4:7]
	ds_write_b128 v163, v[14:17] offset:16
	ds_write_b128 v163, v[18:21] offset:32
	;; [unrolled: 1-line block ×4, first 2 shown]
	s_waitcnt lgkmcnt(0)
	s_barrier
	ds_read2_b64 v[0:3], v188 offset1:100
	ds_read2_b64 v[32:35], v166 offset0:104 offset1:204
	ds_read2_b64 v[24:27], v167 offset0:80 offset1:180
	;; [unrolled: 1-line block ×4, first 2 shown]
	v_add_u32_e32 v171, 0x2800, v188
	v_add_u32_e32 v169, 0x4800, v188
	v_lshl_add_u32 v123, v80, 3, 0
	v_lshl_add_u32 v186, v119, 3, 0
	ds_read_b64 v[112:113], v185
	ds_read_b64 v[104:105], v186
	v_add_u32_e32 v189, 0x3000, v188
	v_add_u32_e32 v190, 0x5000, v188
	v_lshl_add_u32 v126, v118, 3, 0
	v_lshl_add_u32 v127, v117, 3, 0
	ds_read_b64 v[110:111], v122
	ds_read_b64 v[108:109], v123
	;; [unrolled: 1-line block ×4, first 2 shown]
	v_add_u32_e32 v170, 0x3800, v188
	v_add_u32_e32 v191, 0x5400, v188
	v_lshl_add_u32 v187, v116, 3, 0
	ds_read_b64 v[114:115], v174
	ds_read_b64 v[92:93], v187
	ds_read2_b64 v[40:43], v171 offset0:120 offset1:220
	ds_read2_b64 v[36:39], v169 offset0:96 offset1:196
	;; [unrolled: 1-line block ×6, first 2 shown]
	s_waitcnt lgkmcnt(0)
	s_barrier
	ds_write_b128 v148, v[64:67]
	ds_write_b128 v148, v[52:55] offset:16
	ds_write_b128 v148, v[60:63] offset:32
	;; [unrolled: 1-line block ×9, first 2 shown]
	ds_write_b128 v163, v[140:143]
	ds_write_b128 v163, v[128:131] offset:16
	ds_write_b128 v163, v[144:147] offset:32
	;; [unrolled: 1-line block ×4, first 2 shown]
	v_mul_lo_u16_sdwa v44, v184, s24 dst_sel:DWORD dst_unused:UNUSED_PAD src0_sel:BYTE_0 src1_sel:DWORD
	v_lshrrev_b16_e32 v146, 11, v44
	v_mul_lo_u16_e32 v44, 10, v146
	v_sub_u16_e32 v147, v184, v44
	v_mov_b32_e32 v48, 5
	v_lshlrev_b32_sdwa v60, v48, v147 dst_sel:DWORD dst_unused:UNUSED_PAD src0_sel:DWORD src1_sel:BYTE_0
	s_waitcnt lgkmcnt(0)
	s_barrier
	global_load_dwordx4 v[44:47], v60, s[8:9]
	v_add_u32_e32 v162, 0x64, v184
	v_mul_lo_u16_sdwa v49, v162, s24 dst_sel:DWORD dst_unused:UNUSED_PAD src0_sel:BYTE_0 src1_sel:DWORD
	v_lshrrev_b16_e32 v128, 11, v49
	v_mul_lo_u16_e32 v49, 10, v128
	v_sub_u16_e32 v129, v162, v49
	v_lshlrev_b32_sdwa v61, v48, v129 dst_sel:DWORD dst_unused:UNUSED_PAD src0_sel:DWORD src1_sel:BYTE_0
	global_load_dwordx4 v[56:59], v61, s[8:9]
	global_load_dwordx4 v[52:55], v60, s[8:9] offset:16
	global_load_dwordx4 v[48:51], v61, s[8:9] offset:16
	s_mov_b32 s24, 0xcccd
	v_mul_u32_u24_sdwa v60, v164, s24 dst_sel:DWORD dst_unused:UNUSED_PAD src0_sel:WORD_0 src1_sel:DWORD
	v_lshrrev_b32_e32 v177, 19, v60
	v_mul_lo_u16_e32 v60, 10, v177
	v_sub_u16_e32 v176, v164, v60
	v_lshlrev_b32_e32 v68, 5, v176
	v_mul_u32_u24_sdwa v64, v76, s24 dst_sel:DWORD dst_unused:UNUSED_PAD src0_sel:WORD_0 src1_sel:DWORD
	global_load_dwordx4 v[60:63], v68, s[8:9]
	v_lshrrev_b32_e32 v179, 19, v64
	v_mul_lo_u16_e32 v64, 10, v179
	v_sub_u16_e32 v178, v76, v64
	v_mul_u32_u24_sdwa v76, v77, s24 dst_sel:DWORD dst_unused:UNUSED_PAD src0_sel:WORD_0 src1_sel:DWORD
	v_lshlrev_b32_e32 v72, 5, v178
	v_lshrrev_b32_e32 v180, 19, v76
	global_load_dwordx4 v[64:67], v72, s[8:9]
	s_nop 0
	global_load_dwordx4 v[68:71], v68, s[8:9] offset:16
	s_nop 0
	global_load_dwordx4 v[72:75], v72, s[8:9] offset:16
	v_mul_lo_u16_e32 v76, 10, v180
	v_sub_u16_e32 v181, v77, v76
	v_lshlrev_b32_e32 v84, 5, v181
	global_load_dwordx4 v[76:79], v84, s[8:9]
	v_mul_u32_u24_sdwa v81, v80, s24 dst_sel:DWORD dst_unused:UNUSED_PAD src0_sel:WORD_0 src1_sel:DWORD
	v_lshrrev_b32_e32 v183, 19, v81
	v_mul_lo_u16_e32 v81, 10, v183
	v_sub_u16_e32 v182, v80, v81
	v_lshlrev_b32_e32 v88, 5, v182
	v_mul_u32_u24_sdwa v96, v119, s24 dst_sel:DWORD dst_unused:UNUSED_PAD src0_sel:WORD_0 src1_sel:DWORD
	global_load_dwordx4 v[80:83], v88, s[8:9]
	s_nop 0
	global_load_dwordx4 v[84:87], v84, s[8:9] offset:16
	s_nop 0
	global_load_dwordx4 v[88:91], v88, s[8:9] offset:16
	v_lshrrev_b32_e32 v204, 19, v96
	v_mul_lo_u16_e32 v96, 10, v204
	v_sub_u16_e32 v205, v119, v96
	v_lshlrev_b32_e32 v96, 5, v205
	v_mul_u32_u24_sdwa v97, v118, s24 dst_sel:DWORD dst_unused:UNUSED_PAD src0_sel:WORD_0 src1_sel:DWORD
	global_load_dwordx4 v[138:141], v96, s[8:9]
	v_lshrrev_b32_e32 v206, 19, v97
	v_mul_lo_u16_e32 v97, 10, v206
	v_mul_u32_u24_sdwa v101, v116, s24 dst_sel:DWORD dst_unused:UNUSED_PAD src0_sel:WORD_0 src1_sel:DWORD
	v_sub_u16_e32 v207, v118, v97
	v_lshrrev_b32_e32 v210, 19, v101
	v_lshlrev_b32_e32 v100, 5, v207
	v_mul_lo_u16_e32 v101, 10, v210
	global_load_dwordx4 v[142:145], v100, s[8:9]
	global_load_dwordx4 v[148:151], v96, s[8:9] offset:16
	v_sub_u16_e32 v211, v116, v101
	global_load_dwordx4 v[152:155], v100, s[8:9] offset:16
	v_lshlrev_b32_e32 v101, 5, v211
	global_load_dwordx4 v[192:195], v101, s[8:9]
	v_mul_u32_u24_sdwa v100, v117, s24 dst_sel:DWORD dst_unused:UNUSED_PAD src0_sel:WORD_0 src1_sel:DWORD
	v_lshrrev_b32_e32 v208, 19, v100
	v_mul_lo_u16_e32 v100, 10, v208
	v_sub_u16_e32 v209, v117, v100
	v_lshlrev_b32_e32 v100, 5, v209
	global_load_dwordx4 v[156:159], v100, s[8:9]
	global_load_dwordx4 v[196:199], v100, s[8:9] offset:16
	global_load_dwordx4 v[200:203], v101, s[8:9] offset:16
	ds_read2_b64 v[96:99], v166 offset0:104 offset1:204
	v_mov_b32_e32 v175, 3
	s_mov_b32 s24, 0xe8584caa
	s_mov_b32 s25, 0xbfebb67a
	s_mov_b32 s27, 0x3febb67a
	s_mov_b32 s26, s24
	s_mov_b32 s28, 0x5040100
	s_movk_i32 s29, 0xf0
	s_waitcnt vmcnt(19) lgkmcnt(0)
	v_mul_f64 v[120:121], v[96:97], v[46:47]
	v_fmac_f64_e32 v[120:121], v[32:33], v[44:45]
	v_mul_f64 v[32:33], v[32:33], v[46:47]
	v_fma_f64 v[32:33], v[96:97], v[44:45], -v[32:33]
	ds_read2_b64 v[44:47], v167 offset0:80 offset1:180
	s_waitcnt vmcnt(18)
	v_mul_f64 v[96:97], v[98:99], v[58:59]
	v_fmac_f64_e32 v[96:97], v[34:35], v[56:57]
	v_mul_f64 v[34:35], v[34:35], v[58:59]
	v_fma_f64 v[100:101], v[98:99], v[56:57], -v[34:35]
	s_waitcnt vmcnt(17) lgkmcnt(0)
	v_mul_f64 v[34:35], v[44:45], v[54:55]
	v_fmac_f64_e32 v[34:35], v[24:25], v[52:53]
	v_mul_f64 v[24:25], v[24:25], v[54:55]
	v_fma_f64 v[24:25], v[44:45], v[52:53], -v[24:25]
	ds_read2_b64 v[52:55], v168 offset0:48 offset1:148
	s_waitcnt vmcnt(16)
	v_mul_f64 v[102:103], v[46:47], v[50:51]
	v_fmac_f64_e32 v[102:103], v[26:27], v[48:49]
	v_mul_f64 v[26:27], v[26:27], v[50:51]
	v_fma_f64 v[130:131], v[46:47], v[48:49], -v[26:27]
	ds_read2_b64 v[44:47], v165 offset0:152 offset1:252
	s_waitcnt vmcnt(15) lgkmcnt(1)
	v_mul_f64 v[98:99], v[52:53], v[62:63]
	v_fmac_f64_e32 v[98:99], v[16:17], v[60:61]
	v_mul_f64 v[16:17], v[16:17], v[62:63]
	v_fma_f64 v[116:117], v[52:53], v[60:61], -v[16:17]
	s_waitcnt vmcnt(14)
	v_mul_f64 v[56:57], v[54:55], v[66:67]
	v_mul_f64 v[16:17], v[18:19], v[66:67]
	v_fmac_f64_e32 v[56:57], v[18:19], v[64:65]
	v_fma_f64 v[62:63], v[54:55], v[64:65], -v[16:17]
	ds_read2_b64 v[16:19], v171 offset0:120 offset1:220
	s_waitcnt vmcnt(13) lgkmcnt(1)
	v_mul_f64 v[118:119], v[44:45], v[70:71]
	v_fmac_f64_e32 v[118:119], v[12:13], v[68:69]
	v_mul_f64 v[12:13], v[12:13], v[70:71]
	v_fma_f64 v[134:135], v[44:45], v[68:69], -v[12:13]
	s_waitcnt vmcnt(12)
	v_mul_f64 v[12:13], v[14:15], v[74:75]
	v_mul_f64 v[70:71], v[46:47], v[74:75]
	v_fma_f64 v[132:133], v[46:47], v[72:73], -v[12:13]
	s_waitcnt vmcnt(11)
	v_mul_f64 v[12:13], v[40:41], v[78:79]
	v_fmac_f64_e32 v[70:71], v[14:15], v[72:73]
	s_waitcnt lgkmcnt(0)
	v_fma_f64 v[72:73], v[16:17], v[76:77], -v[12:13]
	ds_read2_b64 v[12:15], v169 offset0:96 offset1:196
	v_mul_f64 v[60:61], v[16:17], v[78:79]
	s_waitcnt vmcnt(10)
	v_mul_f64 v[16:17], v[42:43], v[82:83]
	v_fma_f64 v[66:67], v[18:19], v[80:81], -v[16:17]
	s_waitcnt vmcnt(9)
	v_mul_f64 v[16:17], v[36:37], v[86:87]
	v_mul_f64 v[58:59], v[18:19], v[82:83]
	s_waitcnt lgkmcnt(0)
	v_fma_f64 v[136:137], v[12:13], v[84:85], -v[16:17]
	ds_read2_b64 v[16:19], v189 offset0:64 offset1:164
	v_mul_f64 v[78:79], v[12:13], v[86:87]
	s_waitcnt vmcnt(8)
	v_mul_f64 v[12:13], v[38:39], v[90:91]
	v_fmac_f64_e32 v[78:79], v[36:37], v[84:85]
	v_fma_f64 v[84:85], v[14:15], v[88:89], -v[12:13]
	s_waitcnt vmcnt(7)
	v_mul_f64 v[12:13], v[28:29], v[140:141]
	v_fmac_f64_e32 v[58:59], v[42:43], v[80:81]
	v_mul_f64 v[74:75], v[14:15], v[90:91]
	s_waitcnt lgkmcnt(0)
	v_fma_f64 v[80:81], v[16:17], v[138:139], -v[12:13]
	ds_read2_b64 v[12:15], v190 offset0:40 offset1:140
	v_mul_f64 v[68:69], v[16:17], v[140:141]
	s_waitcnt vmcnt(6)
	v_mul_f64 v[16:17], v[30:31], v[144:145]
	v_fmac_f64_e32 v[60:61], v[40:41], v[76:77]
	v_fma_f64 v[76:77], v[18:19], v[142:143], -v[16:17]
	s_waitcnt vmcnt(5)
	v_mul_f64 v[16:17], v[20:21], v[150:151]
	s_waitcnt lgkmcnt(0)
	v_mul_f64 v[86:87], v[12:13], v[150:151]
	v_fma_f64 v[140:141], v[12:13], v[148:149], -v[16:17]
	s_waitcnt vmcnt(4)
	v_mul_f64 v[12:13], v[22:23], v[154:155]
	v_fmac_f64_e32 v[68:69], v[28:29], v[138:139]
	v_mul_f64 v[82:83], v[14:15], v[154:155]
	v_fma_f64 v[138:139], v[14:15], v[152:153], -v[12:13]
	ds_read2_b64 v[12:15], v191 offset0:112 offset1:212
	v_mul_f64 v[64:65], v[18:19], v[144:145]
	ds_read2_b64 v[16:19], v170 offset0:8 offset1:108
	v_fmac_f64_e32 v[64:65], v[30:31], v[142:143]
	v_fmac_f64_e32 v[86:87], v[20:21], v[148:149]
	s_waitcnt vmcnt(1) lgkmcnt(1)
	v_mul_f64 v[144:145], v[12:13], v[198:199]
	v_fmac_f64_e32 v[144:145], v[4:5], v[196:197]
	v_mul_f64 v[4:5], v[4:5], v[198:199]
	s_waitcnt lgkmcnt(0)
	v_mul_f64 v[20:21], v[16:17], v[158:159]
	v_fma_f64 v[154:155], v[12:13], v[196:197], -v[4:5]
	s_waitcnt vmcnt(0)
	v_mul_f64 v[142:143], v[14:15], v[202:203]
	v_mul_f64 v[4:5], v[6:7], v[202:203]
	v_fmac_f64_e32 v[20:21], v[8:9], v[156:157]
	v_mul_f64 v[8:9], v[8:9], v[158:159]
	v_fmac_f64_e32 v[142:143], v[6:7], v[200:201]
	v_fma_f64 v[150:151], v[14:15], v[200:201], -v[4:5]
	v_mul_u32_u24_e32 v4, 0xf0, v146
	v_lshlrev_b32_sdwa v5, v175, v147 dst_sel:DWORD dst_unused:UNUSED_PAD src0_sel:DWORD src1_sel:BYTE_0
	v_add_f64 v[6:7], v[120:121], v[34:35]
	v_fmac_f64_e32 v[74:75], v[38:39], v[88:89]
	v_fma_f64 v[88:89], v[16:17], v[156:157], -v[8:9]
	v_mul_f64 v[8:9], v[10:11], v[194:195]
	v_add3_u32 v200, 0, v4, v5
	v_add_f64 v[4:5], v[0:1], v[120:121]
	v_fma_f64 v[0:1], -0.5, v[6:7], v[0:1]
	v_add_f64 v[6:7], v[32:33], -v[24:25]
	v_fmac_f64_e32 v[82:83], v[22:23], v[152:153]
	v_mul_f64 v[22:23], v[18:19], v[194:195]
	v_fma_f64 v[90:91], v[18:19], v[192:193], -v[8:9]
	v_add_f64 v[4:5], v[4:5], v[34:35]
	v_fma_f64 v[8:9], s[24:25], v[6:7], v[0:1]
	v_fmac_f64_e32 v[0:1], s[26:27], v[6:7]
	v_fmac_f64_e32 v[22:23], v[10:11], v[192:193]
	ds_read_b64 v[158:159], v122
	ds_read_b64 v[156:157], v123
	;; [unrolled: 1-line block ×8, first 2 shown]
	ds_read2_b64 v[192:195], v188 offset1:100
	s_waitcnt lgkmcnt(0)
	s_barrier
	ds_write2_b64 v200, v[4:5], v[8:9] offset1:10
	v_add_f64 v[4:5], v[2:3], v[96:97]
	v_add_f64 v[6:7], v[96:97], v[102:103]
	ds_write_b64 v200, v[0:1] offset:160
	v_mul_u32_u24_e32 v0, 0xf0, v128
	v_lshlrev_b32_sdwa v1, v175, v129 dst_sel:DWORD dst_unused:UNUSED_PAD src0_sel:DWORD src1_sel:BYTE_0
	v_fmac_f64_e32 v[2:3], -0.5, v[6:7]
	v_add3_u32 v201, 0, v0, v1
	v_add_f64 v[0:1], v[4:5], v[102:103]
	v_add_f64 v[4:5], v[100:101], -v[130:131]
	v_fma_f64 v[6:7], s[24:25], v[4:5], v[2:3]
	v_fmac_f64_e32 v[2:3], s[26:27], v[4:5]
	ds_write_b64 v201, v[2:3] offset:160
	v_add_f64 v[2:3], v[98:99], v[118:119]
	ds_write2_b64 v201, v[0:1], v[6:7] offset1:10
	v_add_f64 v[0:1], v[114:115], v[98:99]
	v_fmac_f64_e32 v[114:115], -0.5, v[2:3]
	v_perm_b32 v2, v179, v177, s28
	v_pk_mul_lo_u16 v6, v2, s29 op_sel_hi:[1,0]
	v_lshlrev_b32_e32 v2, 3, v176
	v_and_b32_e32 v3, 0xfff0, v6
	v_add3_u32 v176, 0, v3, v2
	v_add_f64 v[2:3], v[116:117], -v[134:135]
	v_add_f64 v[0:1], v[0:1], v[118:119]
	v_fma_f64 v[4:5], s[24:25], v[2:3], v[114:115]
	v_fmac_f64_e32 v[114:115], s[26:27], v[2:3]
	v_add_f64 v[2:3], v[56:57], v[70:71]
	ds_write2_b64 v176, v[0:1], v[4:5] offset1:10
	v_add_f64 v[0:1], v[112:113], v[56:57]
	v_fmac_f64_e32 v[112:113], -0.5, v[2:3]
	v_lshrrev_b32_e32 v2, 16, v6
	v_lshlrev_b32_e32 v3, 3, v178
	ds_write_b64 v176, v[114:115] offset:160
	v_add3_u32 v114, 0, v2, v3
	v_add_f64 v[2:3], v[62:63], -v[132:133]
	v_add_f64 v[0:1], v[0:1], v[70:71]
	v_fma_f64 v[4:5], s[24:25], v[2:3], v[112:113]
	v_fmac_f64_e32 v[112:113], s[26:27], v[2:3]
	v_add_f64 v[2:3], v[60:61], v[78:79]
	ds_write2_b64 v114, v[0:1], v[4:5] offset1:10
	v_add_f64 v[0:1], v[110:111], v[60:61]
	v_fmac_f64_e32 v[110:111], -0.5, v[2:3]
	v_perm_b32 v2, v183, v180, s28
	v_pk_mul_lo_u16 v6, v2, s29 op_sel_hi:[1,0]
	v_lshlrev_b32_e32 v2, 3, v181
	v_and_b32_e32 v3, 0xfff0, v6
	ds_write_b64 v114, v[112:113] offset:160
	v_add3_u32 v112, 0, v3, v2
	v_add_f64 v[2:3], v[72:73], -v[136:137]
	v_add_f64 v[0:1], v[0:1], v[78:79]
	v_fma_f64 v[4:5], s[24:25], v[2:3], v[110:111]
	v_fmac_f64_e32 v[110:111], s[26:27], v[2:3]
	v_add_f64 v[2:3], v[58:59], v[74:75]
	ds_write2_b64 v112, v[0:1], v[4:5] offset1:10
	v_add_f64 v[0:1], v[108:109], v[58:59]
	v_fmac_f64_e32 v[108:109], -0.5, v[2:3]
	v_lshrrev_b32_e32 v2, 16, v6
	v_lshlrev_b32_e32 v3, 3, v182
	ds_write_b64 v112, v[110:111] offset:160
	v_add3_u32 v110, 0, v2, v3
	v_add_f64 v[2:3], v[66:67], -v[84:85]
	v_add_f64 v[0:1], v[0:1], v[74:75]
	v_fma_f64 v[4:5], s[24:25], v[2:3], v[108:109]
	v_fmac_f64_e32 v[108:109], s[26:27], v[2:3]
	v_add_f64 v[2:3], v[68:69], v[86:87]
	ds_write2_b64 v110, v[0:1], v[4:5] offset1:10
	v_add_f64 v[0:1], v[104:105], v[68:69]
	v_fmac_f64_e32 v[104:105], -0.5, v[2:3]
	v_perm_b32 v2, v206, v204, s28
	v_pk_mul_lo_u16 v6, v2, s29 op_sel_hi:[1,0]
	v_lshlrev_b32_e32 v2, 3, v205
	v_and_b32_e32 v3, 0xfff0, v6
	ds_write_b64 v110, v[108:109] offset:160
	v_add3_u32 v108, 0, v3, v2
	v_add_f64 v[2:3], v[80:81], -v[140:141]
	v_add_f64 v[0:1], v[0:1], v[86:87]
	v_fma_f64 v[4:5], s[24:25], v[2:3], v[104:105]
	v_fmac_f64_e32 v[104:105], s[26:27], v[2:3]
	v_add_f64 v[2:3], v[64:65], v[82:83]
	ds_write2_b64 v108, v[0:1], v[4:5] offset1:10
	v_add_f64 v[0:1], v[106:107], v[64:65]
	v_fmac_f64_e32 v[106:107], -0.5, v[2:3]
	v_lshrrev_b32_e32 v2, 16, v6
	v_lshlrev_b32_e32 v3, 3, v207
	v_add3_u32 v109, 0, v2, v3
	v_add_f64 v[2:3], v[76:77], -v[138:139]
	v_add_f64 v[0:1], v[0:1], v[82:83]
	v_fma_f64 v[4:5], s[24:25], v[2:3], v[106:107]
	v_fmac_f64_e32 v[106:107], s[26:27], v[2:3]
	v_add_f64 v[2:3], v[20:21], v[144:145]
	ds_write_b64 v108, v[104:105] offset:160
	ds_write2_b64 v109, v[0:1], v[4:5] offset1:10
	v_add_f64 v[0:1], v[94:95], v[20:21]
	v_fmac_f64_e32 v[94:95], -0.5, v[2:3]
	v_perm_b32 v2, v210, v208, s28
	v_pk_mul_lo_u16 v6, v2, s29 op_sel_hi:[1,0]
	v_lshlrev_b32_e32 v2, 3, v209
	v_and_b32_e32 v3, 0xfff0, v6
	v_add3_u32 v111, 0, v3, v2
	v_add_f64 v[2:3], v[88:89], -v[154:155]
	v_add_f64 v[0:1], v[0:1], v[144:145]
	v_fma_f64 v[4:5], s[24:25], v[2:3], v[94:95]
	v_fmac_f64_e32 v[94:95], s[26:27], v[2:3]
	v_add_f64 v[2:3], v[22:23], v[142:143]
	ds_write_b64 v109, v[106:107] offset:160
	ds_write2_b64 v111, v[0:1], v[4:5] offset1:10
	v_add_f64 v[0:1], v[92:93], v[22:23]
	v_fmac_f64_e32 v[92:93], -0.5, v[2:3]
	v_lshrrev_b32_e32 v2, 16, v6
	v_lshlrev_b32_e32 v3, 3, v211
	v_add3_u32 v113, 0, v2, v3
	v_add_f64 v[2:3], v[90:91], -v[150:151]
	v_add_f64 v[0:1], v[0:1], v[142:143]
	v_fma_f64 v[4:5], s[24:25], v[2:3], v[92:93]
	ds_write_b64 v111, v[94:95] offset:160
	ds_write2_b64 v113, v[0:1], v[4:5] offset1:10
	v_add_f64 v[0:1], v[192:193], v[32:33]
	v_add_f64 v[94:95], v[0:1], v[24:25]
	;; [unrolled: 1-line block ×3, first 2 shown]
	v_fmac_f64_e32 v[92:93], s[26:27], v[2:3]
	v_add_f64 v[104:105], v[120:121], -v[34:35]
	ds_write_b64 v113, v[92:93] offset:160
	v_fma_f64 v[92:93], -0.5, v[0:1], v[192:193]
	v_fma_f64 v[106:107], s[26:27], v[104:105], v[92:93]
	s_waitcnt lgkmcnt(0)
	s_barrier
	v_add_u32_e32 v192, 0x800, v188
	v_add_u32_e32 v193, 0x1400, v188
	ds_read_b64 v[128:129], v185
	ds_read_b64 v[126:127], v186
	;; [unrolled: 1-line block ×4, first 2 shown]
	ds_read2_b64 v[0:3], v188 offset1:100
	ds_read2_b64 v[52:55], v168 offset0:48 offset1:148
	ds_read2_b64 v[28:31], v171 offset0:120 offset1:220
	;; [unrolled: 1-line block ×12, first 2 shown]
	s_waitcnt lgkmcnt(0)
	s_barrier
	ds_write2_b64 v200, v[94:95], v[106:107] offset1:10
	v_fmac_f64_e32 v[92:93], s[24:25], v[104:105]
	v_add_f64 v[94:95], v[100:101], v[130:131]
	ds_write_b64 v200, v[92:93] offset:160
	v_add_f64 v[92:93], v[194:195], v[100:101]
	v_fmac_f64_e32 v[194:195], -0.5, v[94:95]
	v_add_f64 v[94:95], v[96:97], -v[102:103]
	v_add_f64 v[92:93], v[92:93], v[130:131]
	v_fma_f64 v[96:97], s[26:27], v[94:95], v[194:195]
	v_fmac_f64_e32 v[194:195], s[24:25], v[94:95]
	v_add_f64 v[94:95], v[116:117], v[134:135]
	ds_write2_b64 v201, v[92:93], v[96:97] offset1:10
	v_add_f64 v[92:93], v[198:199], v[116:117]
	v_fmac_f64_e32 v[198:199], -0.5, v[94:95]
	v_add_f64 v[94:95], v[98:99], -v[118:119]
	v_add_f64 v[92:93], v[92:93], v[134:135]
	v_fma_f64 v[96:97], s[26:27], v[94:95], v[198:199]
	ds_write_b64 v201, v[194:195] offset:160
	ds_write2_b64 v176, v[92:93], v[96:97] offset1:10
	v_add_f64 v[92:93], v[196:197], v[62:63]
	v_add_f64 v[62:63], v[62:63], v[132:133]
	v_fmac_f64_e32 v[196:197], -0.5, v[62:63]
	v_add_f64 v[56:57], v[56:57], -v[70:71]
	v_fmac_f64_e32 v[198:199], s[24:25], v[94:95]
	v_add_f64 v[92:93], v[92:93], v[132:133]
	v_fma_f64 v[62:63], s[26:27], v[56:57], v[196:197]
	ds_write_b64 v176, v[198:199] offset:160
	ds_write2_b64 v114, v[92:93], v[62:63] offset1:10
	v_add_f64 v[62:63], v[72:73], v[136:137]
	v_fmac_f64_e32 v[196:197], s[24:25], v[56:57]
	v_add_f64 v[56:57], v[158:159], v[72:73]
	v_fmac_f64_e32 v[158:159], -0.5, v[62:63]
	v_add_f64 v[60:61], v[60:61], -v[78:79]
	v_fma_f64 v[62:63], s[26:27], v[60:61], v[158:159]
	v_fmac_f64_e32 v[158:159], s[24:25], v[60:61]
	v_add_f64 v[60:61], v[156:157], v[66:67]
	v_add_f64 v[66:67], v[66:67], v[84:85]
	v_fmac_f64_e32 v[156:157], -0.5, v[66:67]
	v_add_f64 v[58:59], v[58:59], -v[74:75]
	v_add_f64 v[70:71], v[80:81], v[140:141]
	v_fma_f64 v[66:67], s[26:27], v[58:59], v[156:157]
	v_fmac_f64_e32 v[156:157], s[24:25], v[58:59]
	v_add_f64 v[58:59], v[160:161], v[80:81]
	v_fmac_f64_e32 v[160:161], -0.5, v[70:71]
	v_add_f64 v[68:69], v[68:69], -v[86:87]
	v_add_f64 v[72:73], v[76:77], v[138:139]
	v_fma_f64 v[70:71], s[26:27], v[68:69], v[160:161]
	v_fmac_f64_e32 v[160:161], s[24:25], v[68:69]
	;; [unrolled: 6-line block ×4, first 2 shown]
	v_add_f64 v[20:21], v[152:153], v[90:91]
	v_fmac_f64_e32 v[152:153], -0.5, v[76:77]
	v_add_f64 v[22:23], v[22:23], -v[142:143]
	v_add_f64 v[56:57], v[56:57], v[136:137]
	v_add_f64 v[20:21], v[20:21], v[150:151]
	v_fma_f64 v[76:77], s[26:27], v[22:23], v[152:153]
	v_fmac_f64_e32 v[152:153], s[24:25], v[22:23]
	s_movk_i32 s24, 0x89
	ds_write_b64 v114, v[196:197] offset:160
	v_add_f64 v[60:61], v[60:61], v[84:85]
	v_add_f64 v[58:59], v[58:59], v[140:141]
	v_add_f64 v[68:69], v[68:69], v[138:139]
	v_add_f64 v[64:65], v[64:65], v[154:155]
	ds_write2_b64 v112, v[56:57], v[62:63] offset1:10
	ds_write_b64 v112, v[158:159] offset:160
	ds_write2_b64 v110, v[60:61], v[66:67] offset1:10
	ds_write_b64 v110, v[156:157] offset:160
	ds_write2_b64 v108, v[58:59], v[70:71] offset1:10
	ds_write_b64 v108, v[160:161] offset:160
	ds_write2_b64 v109, v[68:69], v[72:73] offset1:10
	ds_write_b64 v109, v[148:149] offset:160
	ds_write2_b64 v111, v[64:65], v[74:75] offset1:10
	ds_write_b64 v111, v[146:147] offset:160
	ds_write2_b64 v113, v[20:21], v[76:77] offset1:10
	ds_write_b64 v113, v[152:153] offset:160
	v_mul_lo_u16_sdwa v20, v184, s24 dst_sel:DWORD dst_unused:UNUSED_PAD src0_sel:BYTE_0 src1_sel:DWORD
	v_lshrrev_b16_e32 v152, 12, v20
	v_mul_lo_u16_e32 v20, 30, v152
	v_sub_u16_e32 v153, v184, v20
	v_mov_b32_e32 v20, 9
	v_mul_u32_u24_sdwa v21, v153, v20 dst_sel:DWORD dst_unused:UNUSED_PAD src0_sel:BYTE_0 src1_sel:DWORD
	v_lshlrev_b32_e32 v146, 4, v21
	s_waitcnt lgkmcnt(0)
	s_barrier
	global_load_dwordx4 v[56:59], v146, s[8:9] offset:368
	v_mul_lo_u16_sdwa v21, v162, s24 dst_sel:DWORD dst_unused:UNUSED_PAD src0_sel:BYTE_0 src1_sel:DWORD
	v_lshrrev_b16_e32 v154, 12, v21
	v_mul_lo_u16_e32 v21, 30, v154
	v_sub_u16_e32 v155, v162, v21
	v_mul_u32_u24_sdwa v20, v155, v20 dst_sel:DWORD dst_unused:UNUSED_PAD src0_sel:BYTE_0 src1_sel:DWORD
	v_lshlrev_b32_e32 v136, 4, v20
	global_load_dwordx4 v[64:67], v136, s[8:9] offset:368
	global_load_dwordx4 v[60:63], v146, s[8:9] offset:400
	;; [unrolled: 1-line block ×6, first 2 shown]
	s_mov_b32 s24, 0x8889
	v_mul_u32_u24_sdwa v20, v164, s24 dst_sel:DWORD dst_unused:UNUSED_PAD src0_sel:WORD_0 src1_sel:DWORD
	v_lshrrev_b32_e32 v156, 20, v20
	v_mul_lo_u16_e32 v20, 30, v156
	v_sub_u16_e32 v157, v164, v20
	v_mul_u32_u24_e32 v20, 9, v157
	v_lshlrev_b32_e32 v137, 4, v20
	global_load_dwordx4 v[84:87], v137, s[8:9] offset:320
	global_load_dwordx4 v[88:91], v136, s[8:9] offset:336
	;; [unrolled: 1-line block ×8, first 2 shown]
	ds_read2_b64 v[132:135], v168 offset0:48 offset1:148
	global_load_dwordx4 v[116:119], v137, s[8:9] offset:384
	global_load_dwordx4 v[20:23], v146, s[8:9] offset:352
	;; [unrolled: 1-line block ×10, first 2 shown]
	s_movk_i32 s27, 0x4000
	s_movk_i32 s28, 0x3000
	;; [unrolled: 1-line block ×3, first 2 shown]
	s_waitcnt vmcnt(24) lgkmcnt(0)
	v_mul_f64 v[150:151], v[132:133], v[58:59]
	v_fmac_f64_e32 v[150:151], v[52:53], v[56:57]
	v_mul_f64 v[52:53], v[52:53], v[58:59]
	v_fma_f64 v[142:143], v[132:133], v[56:57], -v[52:53]
	ds_read2_b64 v[56:59], v170 offset0:8 offset1:108
	s_waitcnt vmcnt(23)
	v_mul_f64 v[52:53], v[54:55], v[66:67]
	v_fma_f64 v[130:131], v[134:135], v[64:65], -v[52:53]
	v_mul_f64 v[132:133], v[134:135], v[66:67]
	v_fmac_f64_e32 v[132:133], v[54:55], v[64:65]
	s_waitcnt vmcnt(22) lgkmcnt(0)
	v_mul_f64 v[52:53], v[56:57], v[62:63]
	v_fmac_f64_e32 v[52:53], v[48:49], v[60:61]
	v_mul_f64 v[48:49], v[48:49], v[62:63]
	v_fma_f64 v[144:145], v[56:57], v[60:61], -v[48:49]
	ds_read2_b64 v[54:57], v169 offset0:96 offset1:196
	s_waitcnt vmcnt(21)
	v_mul_f64 v[134:135], v[58:59], v[74:75]
	v_mul_f64 v[48:49], v[50:51], v[74:75]
	v_fmac_f64_e32 v[134:135], v[50:51], v[72:73]
	v_fma_f64 v[72:73], v[58:59], v[72:73], -v[48:49]
	ds_read2_b64 v[58:61], v192 offset0:144 offset1:244
	s_waitcnt vmcnt(20) lgkmcnt(1)
	v_mul_f64 v[48:49], v[54:55], v[70:71]
	v_fmac_f64_e32 v[48:49], v[44:45], v[68:69]
	v_mul_f64 v[44:45], v[44:45], v[70:71]
	v_fma_f64 v[148:149], v[54:55], v[68:69], -v[44:45]
	s_waitcnt vmcnt(18) lgkmcnt(0)
	v_mul_f64 v[136:137], v[58:59], v[82:83]
	v_mul_f64 v[140:141], v[56:57], v[78:79]
	;; [unrolled: 1-line block ×3, first 2 shown]
	v_fmac_f64_e32 v[136:137], v[40:41], v[80:81]
	v_mul_f64 v[40:41], v[40:41], v[82:83]
	v_fmac_f64_e32 v[140:141], v[46:47], v[76:77]
	v_fma_f64 v[74:75], v[56:57], v[76:77], -v[44:45]
	v_fma_f64 v[138:139], v[58:59], v[80:81], -v[40:41]
	s_waitcnt vmcnt(17)
	v_mul_f64 v[64:65], v[60:61], v[86:87]
	global_load_dwordx4 v[44:47], v146, s[8:9] offset:320
	v_mul_f64 v[40:41], v[42:43], v[86:87]
	v_fmac_f64_e32 v[64:65], v[42:43], v[84:85]
	v_fma_f64 v[66:67], v[60:61], v[84:85], -v[40:41]
	global_load_dwordx4 v[40:43], v146, s[8:9] offset:336
	ds_read2_b64 v[54:57], v193 offset0:60 offset1:160
	ds_read2_b64 v[58:61], v166 offset0:104 offset1:204
	;; [unrolled: 1-line block ×3, first 2 shown]
	s_waitcnt vmcnt(18) lgkmcnt(2)
	v_mul_f64 v[146:147], v[54:55], v[90:91]
	v_fmac_f64_e32 v[146:147], v[36:37], v[88:89]
	v_mul_f64 v[36:37], v[36:37], v[90:91]
	v_fma_f64 v[84:85], v[54:55], v[88:89], -v[36:37]
	s_waitcnt vmcnt(17)
	v_mul_f64 v[36:37], v[38:39], v[94:95]
	v_mul_f64 v[68:69], v[56:57], v[94:95]
	v_fma_f64 v[36:37], v[56:57], v[92:93], -v[36:37]
	s_waitcnt vmcnt(16) lgkmcnt(1)
	v_mul_f64 v[56:57], v[58:59], v[98:99]
	v_fmac_f64_e32 v[56:57], v[32:33], v[96:97]
	v_mul_f64 v[32:33], v[32:33], v[98:99]
	v_fma_f64 v[54:55], v[58:59], v[96:97], -v[32:33]
	s_waitcnt vmcnt(15)
	v_mul_f64 v[32:33], v[34:35], v[106:107]
	v_mul_f64 v[50:51], v[60:61], v[106:107]
	v_fma_f64 v[32:33], v[60:61], v[104:105], -v[32:33]
	s_waitcnt vmcnt(14) lgkmcnt(0)
	v_mul_f64 v[58:59], v[78:79], v[102:103]
	ds_read2_b64 v[60:63], v189 offset0:64 offset1:164
	s_waitcnt vmcnt(13)
	v_mul_f64 v[80:81], v[76:77], v[114:115]
	v_fmac_f64_e32 v[58:59], v[30:31], v[100:101]
	v_mul_f64 v[30:31], v[30:31], v[102:103]
	v_fmac_f64_e32 v[80:81], v[28:29], v[112:113]
	v_mul_f64 v[28:29], v[28:29], v[114:115]
	v_fma_f64 v[30:31], v[78:79], v[100:101], -v[30:31]
	v_fma_f64 v[70:71], v[76:77], v[112:113], -v[28:29]
	ds_read2_b64 v[76:79], v167 offset0:80 offset1:180
	ds_read2_b64 v[94:97], v165 offset0:152 offset1:252
	v_fmac_f64_e32 v[50:51], v[34:35], v[104:105]
	s_waitcnt vmcnt(12) lgkmcnt(2)
	v_mul_f64 v[34:35], v[60:61], v[110:111]
	v_fmac_f64_e32 v[34:35], v[24:25], v[108:109]
	v_mul_f64 v[24:25], v[24:25], v[110:111]
	v_fma_f64 v[90:91], v[60:61], v[108:109], -v[24:25]
	s_waitcnt vmcnt(9) lgkmcnt(1)
	v_mul_f64 v[60:61], v[78:79], v[160:161]
	s_waitcnt vmcnt(7)
	v_mul_f64 v[86:87], v[76:77], v[178:179]
	v_mul_f64 v[24:25], v[26:27], v[118:119]
	v_fmac_f64_e32 v[60:61], v[18:19], v[158:159]
	v_mul_f64 v[18:19], v[18:19], v[160:161]
	v_fmac_f64_e32 v[86:87], v[16:17], v[176:177]
	;; [unrolled: 2-line block ×3, first 2 shown]
	v_fma_f64 v[38:39], v[62:63], v[116:117], -v[24:25]
	v_fma_f64 v[24:25], v[78:79], v[158:159], -v[18:19]
	;; [unrolled: 1-line block ×3, first 2 shown]
	s_waitcnt vmcnt(5) lgkmcnt(0)
	v_mul_f64 v[16:17], v[94:95], v[182:183]
	v_fmac_f64_e32 v[16:17], v[12:13], v[180:181]
	v_mul_f64 v[12:13], v[12:13], v[182:183]
	v_fma_f64 v[94:95], v[94:95], v[180:181], -v[12:13]
	ds_read2_b64 v[76:79], v190 offset0:40 offset1:140
	v_mul_f64 v[12:13], v[96:97], v[196:197]
	v_fmac_f64_e32 v[12:13], v[14:15], v[194:195]
	v_mul_f64 v[14:15], v[14:15], v[196:197]
	v_fma_f64 v[82:83], v[96:97], v[194:195], -v[14:15]
	ds_read2_b64 v[96:99], v191 offset0:112 offset1:212
	s_waitcnt vmcnt(3) lgkmcnt(1)
	v_mul_f64 v[92:93], v[76:77], v[204:205]
	v_mul_f64 v[28:29], v[62:63], v[118:119]
	v_fmac_f64_e32 v[92:93], v[8:9], v[202:203]
	v_mul_f64 v[8:9], v[8:9], v[204:205]
	v_fmac_f64_e32 v[28:29], v[26:27], v[116:117]
	v_fma_f64 v[8:9], v[76:77], v[202:203], -v[8:9]
	s_waitcnt lgkmcnt(0)
	v_mul_f64 v[26:27], v[96:97], v[208:209]
	ds_read_b64 v[76:77], v185
	v_fmac_f64_e32 v[26:27], v[4:5], v[206:207]
	v_mul_f64 v[4:5], v[4:5], v[208:209]
	v_fma_f64 v[96:97], v[96:97], v[206:207], -v[4:5]
	s_waitcnt vmcnt(2)
	v_mul_f64 v[14:15], v[98:99], v[212:213]
	v_mul_f64 v[4:5], v[6:7], v[212:213]
	v_fmac_f64_e32 v[14:15], v[6:7], v[210:211]
	v_fma_f64 v[88:89], v[98:99], v[210:211], -v[4:5]
	ds_read_b64 v[6:7], v186
	ds_read_b64 v[4:5], v187
	;; [unrolled: 1-line block ×3, first 2 shown]
	v_mul_f64 v[62:63], v[78:79], v[200:201]
	v_fmac_f64_e32 v[62:63], v[10:11], v[198:199]
	v_mul_f64 v[10:11], v[10:11], v[200:201]
	s_waitcnt vmcnt(1) lgkmcnt(3)
	v_mul_f64 v[108:109], v[76:77], v[46:47]
	v_mul_f64 v[46:47], v[128:129], v[46:47]
	v_fmac_f64_e32 v[108:109], v[128:129], v[44:45]
	v_fma_f64 v[110:111], v[76:77], v[44:45], -v[46:47]
	s_waitcnt vmcnt(0) lgkmcnt(2)
	v_mul_f64 v[44:45], v[6:7], v[42:43]
	v_mul_f64 v[42:43], v[126:127], v[42:43]
	v_fmac_f64_e32 v[44:45], v[126:127], v[40:41]
	v_fma_f64 v[112:113], v[6:7], v[40:41], -v[42:43]
	s_waitcnt lgkmcnt(1)
	v_mul_f64 v[40:41], v[4:5], v[22:23]
	v_mul_f64 v[6:7], v[122:123], v[22:23]
	v_fmac_f64_e32 v[40:41], v[122:123], v[20:21]
	v_fma_f64 v[20:21], v[4:5], v[20:21], -v[6:7]
	v_add_f64 v[4:5], v[132:133], v[134:135]
	v_fma_f64 v[22:23], -0.5, v[4:5], v[2:3]
	v_add_f64 v[4:5], v[146:147], v[140:141]
	v_add_f64 v[46:47], v[2:3], v[146:147]
	v_fmac_f64_e32 v[2:3], -0.5, v[4:5]
	v_add_f64 v[4:5], v[132:133], -v[146:147]
	v_add_f64 v[6:7], v[134:135], -v[140:141]
	v_add_f64 v[76:77], v[4:5], v[6:7]
	v_add_f64 v[4:5], v[34:35], v[16:17]
	v_fma_f64 v[42:43], -0.5, v[4:5], v[136:137]
	v_add_f64 v[4:5], v[56:57], v[26:27]
	v_fma_f64 v[10:11], v[78:79], v[198:199], -v[10:11]
	v_add_f64 v[78:79], v[136:137], v[56:57]
	v_fmac_f64_e32 v[136:137], -0.5, v[4:5]
	v_add_f64 v[4:5], v[34:35], -v[56:57]
	v_add_f64 v[6:7], v[16:17], -v[26:27]
	v_add_f64 v[158:159], v[4:5], v[6:7]
	v_add_f64 v[4:5], v[90:91], v[94:95]
	v_fma_f64 v[100:101], -0.5, v[4:5], v[138:139]
	v_add_f64 v[4:5], v[54:55], v[96:97]
	v_add_f64 v[102:103], v[138:139], v[54:55]
	v_fmac_f64_e32 v[138:139], -0.5, v[4:5]
	v_add_f64 v[196:197], v[34:35], -v[16:17]
	v_add_f64 v[4:5], v[90:91], -v[54:55]
	;; [unrolled: 1-line block ×4, first 2 shown]
	v_fma_f64 v[106:107], s[10:11], v[196:197], v[138:139]
	v_fmac_f64_e32 v[138:139], s[12:13], v[196:197]
	v_add_f64 v[198:199], v[56:57], -v[26:27]
	v_add_f64 v[160:161], v[4:5], v[6:7]
	v_add_f64 v[4:5], v[150:151], v[52:53]
	v_add_f64 v[176:177], v[130:131], -v[72:73]
	v_fma_f64 v[104:105], s[12:13], v[182:183], v[136:137]
	v_fmac_f64_e32 v[136:137], s[10:11], v[182:183]
	v_add_f64 v[194:195], v[54:55], -v[96:97]
	v_fmac_f64_e32 v[138:139], s[2:3], v[198:199]
	v_fma_f64 v[122:123], -0.5, v[4:5], v[0:1]
	v_add_f64 v[4:5], v[44:45], v[48:49]
	v_fma_f64 v[178:179], s[12:13], v[176:177], v[2:3]
	v_fmac_f64_e32 v[2:3], s[10:11], v[176:177]
	v_add_f64 v[180:181], v[84:85], -v[74:75]
	v_fmac_f64_e32 v[136:137], s[14:15], v[194:195]
	v_fmac_f64_e32 v[138:139], s[4:5], v[160:161]
	v_fma_f64 v[128:129], -0.5, v[4:5], v[0:1]
	v_fmac_f64_e32 v[2:3], s[14:15], v[180:181]
	v_fmac_f64_e32 v[136:137], s[4:5], v[158:159]
	v_mul_f64 v[4:5], v[138:139], s[10:11]
	v_fmac_f64_e32 v[2:3], s[4:5], v[76:77]
	v_fmac_f64_e32 v[4:5], s[16:17], v[136:137]
	v_add_f64 v[200:201], v[2:3], v[4:5]
	v_add_f64 v[2:3], v[2:3], -v[4:5]
	v_add_f64 v[0:1], v[0:1], v[44:45]
	v_add_f64 v[4:5], v[44:45], -v[150:151]
	v_add_f64 v[6:7], v[48:49], -v[52:53]
	v_add_f64 v[202:203], v[4:5], v[6:7]
	v_add_f64 v[4:5], v[40:41], -v[58:59]
	v_add_f64 v[6:7], v[62:63], -v[60:61]
	v_add_f64 v[0:1], v[0:1], v[150:151]
	v_add_f64 v[204:205], v[4:5], v[6:7]
	v_add_f64 v[4:5], v[20:21], -v[30:31]
	v_add_f64 v[6:7], v[10:11], -v[24:25]
	v_add_f64 v[0:1], v[0:1], v[52:53]
	v_add_f64 v[206:207], v[4:5], v[6:7]
	v_mul_u32_u24_e32 v4, 0x960, v152
	v_lshlrev_b32_sdwa v5, v175, v153 dst_sel:DWORD dst_unused:UNUSED_PAD src0_sel:DWORD src1_sel:BYTE_0
	v_add_f64 v[152:153], v[0:1], v[48:49]
	v_add_f64 v[0:1], v[108:109], v[40:41]
	;; [unrolled: 1-line block ×3, first 2 shown]
	v_add3_u32 v230, 0, v4, v5
	v_add_f64 v[0:1], v[0:1], v[60:61]
	v_add_f64 v[4:5], v[30:31], v[24:25]
	;; [unrolled: 1-line block ×4, first 2 shown]
	v_fma_f64 v[116:117], -0.5, v[4:5], v[110:111]
	v_add_f64 v[220:221], v[40:41], -v[62:63]
	v_fma_f64 v[114:115], -0.5, v[0:1], v[108:109]
	v_add_f64 v[216:217], v[20:21], -v[10:11]
	v_fma_f64 v[222:223], s[12:13], v[220:221], v[116:117]
	v_add_f64 v[224:225], v[58:59], -v[60:61]
	v_add_f64 v[208:209], v[112:113], -v[148:149]
	v_fma_f64 v[0:1], s[10:11], v[216:217], v[114:115]
	v_add_f64 v[218:219], v[30:31], -v[24:25]
	v_fmac_f64_e32 v[222:223], s[14:15], v[224:225]
	v_fma_f64 v[210:211], s[10:11], v[208:209], v[122:123]
	v_add_f64 v[212:213], v[142:143], -v[144:145]
	v_fmac_f64_e32 v[0:1], s[2:3], v[218:219]
	v_fmac_f64_e32 v[222:223], s[4:5], v[206:207]
	;; [unrolled: 1-line block ×4, first 2 shown]
	v_mul_f64 v[226:227], v[222:223], s[2:3]
	v_fmac_f64_e32 v[210:211], s[4:5], v[202:203]
	v_fmac_f64_e32 v[226:227], s[18:19], v[0:1]
	v_add_f64 v[118:119], v[152:153], v[214:215]
	v_add_f64 v[126:127], v[210:211], v[226:227]
	ds_read2_b64 v[4:7], v188 offset1:100
	s_waitcnt lgkmcnt(0)
	s_barrier
	ds_write2_b64 v230, v[118:119], v[126:127] offset1:30
	v_add_f64 v[118:119], v[150:151], -v[44:45]
	v_add_f64 v[126:127], v[52:53], -v[48:49]
	v_fma_f64 v[228:229], s[12:13], v[212:213], v[128:129]
	v_fmac_f64_e32 v[128:129], s[10:11], v[212:213]
	v_add_f64 v[118:119], v[118:119], v[126:127]
	v_fmac_f64_e32 v[228:229], s[2:3], v[208:209]
	v_fmac_f64_e32 v[128:129], s[14:15], v[208:209]
	;; [unrolled: 1-line block ×4, first 2 shown]
	v_add_f64 v[118:119], v[40:41], v[62:63]
	v_fmac_f64_e32 v[108:109], -0.5, v[118:119]
	v_add_f64 v[40:41], v[58:59], -v[40:41]
	v_add_f64 v[58:59], v[60:61], -v[62:63]
	v_fma_f64 v[118:119], s[12:13], v[218:219], v[108:109]
	v_fmac_f64_e32 v[108:109], s[10:11], v[218:219]
	v_add_f64 v[40:41], v[40:41], v[58:59]
	v_fmac_f64_e32 v[118:119], s[2:3], v[216:217]
	v_fmac_f64_e32 v[108:109], s[14:15], v[216:217]
	v_add_f64 v[58:59], v[20:21], v[10:11]
	v_fmac_f64_e32 v[118:119], s[4:5], v[40:41]
	v_fmac_f64_e32 v[108:109], s[4:5], v[40:41]
	v_add_f64 v[40:41], v[110:111], v[20:21]
	v_fmac_f64_e32 v[110:111], -0.5, v[58:59]
	v_add_f64 v[20:21], v[30:31], -v[20:21]
	v_add_f64 v[58:59], v[24:25], -v[10:11]
	v_fma_f64 v[126:127], s[10:11], v[224:225], v[110:111]
	v_fmac_f64_e32 v[110:111], s[12:13], v[224:225]
	v_add_f64 v[20:21], v[20:21], v[58:59]
	v_fmac_f64_e32 v[126:127], s[14:15], v[220:221]
	v_fmac_f64_e32 v[110:111], s[2:3], v[220:221]
	;; [unrolled: 1-line block ×4, first 2 shown]
	v_mul_f64 v[20:21], v[126:127], s[10:11]
	v_mul_f64 v[58:59], v[110:111], s[10:11]
	v_fmac_f64_e32 v[116:117], s[10:11], v[220:221]
	v_fmac_f64_e32 v[20:21], s[4:5], v[118:119]
	;; [unrolled: 1-line block ×5, first 2 shown]
	v_add_f64 v[60:61], v[228:229], v[20:21]
	v_add_f64 v[62:63], v[128:129], v[58:59]
	v_fmac_f64_e32 v[122:123], s[12:13], v[208:209]
	v_fmac_f64_e32 v[114:115], s[14:15], v[218:219]
	;; [unrolled: 1-line block ×3, first 2 shown]
	ds_write2_b64 v230, v[60:61], v[62:63] offset0:60 offset1:90
	v_fmac_f64_e32 v[122:123], s[14:15], v[212:213]
	v_fmac_f64_e32 v[114:115], s[4:5], v[204:205]
	v_mul_f64 v[62:63], v[116:117], s[2:3]
	v_fmac_f64_e32 v[122:123], s[4:5], v[202:203]
	v_fmac_f64_e32 v[62:63], s[20:21], v[114:115]
	v_add_f64 v[60:61], v[152:153], -v[214:215]
	v_add_f64 v[152:153], v[122:123], v[62:63]
	ds_write2_b64 v230, v[152:153], v[60:61] offset0:120 offset1:150
	v_add_f64 v[60:61], v[210:211], -v[226:227]
	v_add_f64 v[20:21], v[228:229], -v[20:21]
	ds_write2_b64 v230, v[60:61], v[20:21] offset0:180 offset1:210
	v_add_f64 v[20:21], v[128:129], -v[58:59]
	v_add_f64 v[58:59], v[122:123], -v[62:63]
	v_add_u32_e32 v210, 0x400, v230
	ds_write2_b64 v210, v[20:21], v[58:59] offset0:112 offset1:142
	v_add_f64 v[20:21], v[146:147], -v[132:133]
	v_add_f64 v[58:59], v[140:141], -v[134:135]
	v_add_f64 v[20:21], v[20:21], v[58:59]
	v_add_f64 v[58:59], v[78:79], v[34:35]
	v_add_f64 v[34:35], v[56:57], -v[34:35]
	v_add_f64 v[56:57], v[58:59], v[16:17]
	v_add_f64 v[16:17], v[26:27], -v[16:17]
	v_add_f64 v[56:57], v[56:57], v[26:27]
	v_add_f64 v[16:17], v[34:35], v[16:17]
	v_add_f64 v[26:27], v[54:55], -v[90:91]
	v_add_f64 v[34:35], v[96:97], -v[94:95]
	v_fma_f64 v[128:129], s[12:13], v[198:199], v[100:101]
	v_add_f64 v[26:27], v[26:27], v[34:35]
	v_lshlrev_b32_sdwa v34, v175, v155 dst_sel:DWORD dst_unused:UNUSED_PAD src0_sel:DWORD src1_sel:BYTE_0
	v_mul_u32_u24_e32 v35, 0x960, v154
	v_fma_f64 v[122:123], s[10:11], v[194:195], v[42:43]
	v_fmac_f64_e32 v[128:129], s[14:15], v[196:197]
	v_add3_u32 v211, 0, v35, v34
	v_add_f64 v[34:35], v[46:47], v[132:133]
	v_fma_f64 v[46:47], s[10:11], v[180:181], v[22:23]
	v_fmac_f64_e32 v[122:123], s[2:3], v[182:183]
	v_fmac_f64_e32 v[128:129], s[4:5], v[26:27]
	;; [unrolled: 1-line block ×3, first 2 shown]
	v_add_f64 v[34:35], v[34:35], v[134:135]
	v_fmac_f64_e32 v[46:47], s[2:3], v[176:177]
	v_fmac_f64_e32 v[122:123], s[4:5], v[16:17]
	v_mul_f64 v[54:55], v[128:129], s[2:3]
	v_fmac_f64_e32 v[22:23], s[12:13], v[180:181]
	v_fmac_f64_e32 v[42:43], s[12:13], v[194:195]
	;; [unrolled: 1-line block ×3, first 2 shown]
	v_add_f64 v[34:35], v[34:35], v[140:141]
	v_fmac_f64_e32 v[46:47], s[4:5], v[20:21]
	v_fmac_f64_e32 v[54:55], s[18:19], v[122:123]
	;; [unrolled: 1-line block ×6, first 2 shown]
	v_add_f64 v[58:59], v[34:35], v[56:57]
	v_add_f64 v[60:61], v[46:47], v[54:55]
	v_fmac_f64_e32 v[104:105], s[2:3], v[194:195]
	v_fmac_f64_e32 v[106:107], s[4:5], v[160:161]
	;; [unrolled: 1-line block ×4, first 2 shown]
	v_mul_f64 v[20:21], v[100:101], s[2:3]
	ds_write2_b64 v211, v[58:59], v[60:61] offset1:30
	v_fmac_f64_e32 v[178:179], s[2:3], v[180:181]
	v_fmac_f64_e32 v[104:105], s[4:5], v[158:159]
	v_mul_f64 v[58:59], v[106:107], s[10:11]
	v_fmac_f64_e32 v[20:21], s[20:21], v[42:43]
	v_fmac_f64_e32 v[178:179], s[4:5], v[76:77]
	;; [unrolled: 1-line block ×3, first 2 shown]
	v_add_f64 v[16:17], v[34:35], -v[56:57]
	v_add_f64 v[26:27], v[22:23], v[20:21]
	ds_write2_b64 v211, v[26:27], v[16:17] offset0:120 offset1:150
	v_add_f64 v[16:17], v[46:47], -v[54:55]
	v_add_f64 v[26:27], v[178:179], -v[58:59]
	ds_write2_b64 v211, v[16:17], v[26:27] offset0:180 offset1:210
	v_add_f64 v[16:17], v[22:23], -v[20:21]
	v_add_u32_e32 v212, 0x400, v211
	ds_write2_b64 v212, v[2:3], v[16:17] offset0:112 offset1:142
	v_add_f64 v[2:3], v[68:69], -v[80:81]
	v_add_f64 v[16:17], v[92:93], -v[86:87]
	v_add_f64 v[2:3], v[2:3], v[16:17]
	v_add_f64 v[16:17], v[50:51], -v[28:29]
	v_add_f64 v[20:21], v[14:15], -v[12:13]
	v_add_f64 v[16:17], v[16:17], v[20:21]
	;; [unrolled: 3-line block ×3, first 2 shown]
	v_add_f64 v[60:61], v[178:179], v[58:59]
	v_add_f64 v[20:21], v[20:21], v[22:23]
	v_mul_u32_u24_e32 v22, 0x960, v156
	v_lshlrev_b32_e32 v23, 3, v157
	v_add_f64 v[58:59], v[28:29], v[12:13]
	v_fma_f64 v[156:157], -0.5, v[62:63], v[66:67]
	v_add_f64 v[62:63], v[50:51], -v[14:15]
	v_add_f64 v[26:27], v[80:81], v[86:87]
	v_fma_f64 v[152:153], -0.5, v[58:59], v[64:65]
	v_add_f64 v[58:59], v[32:33], -v[88:89]
	v_fma_f64 v[158:159], s[12:13], v[62:63], v[156:157]
	v_add_f64 v[76:77], v[28:29], -v[12:13]
	ds_write2_b64 v211, v[60:61], v[200:201] offset0:60 offset1:90
	v_add3_u32 v213, 0, v22, v23
	v_add_f64 v[22:23], v[120:121], v[68:69]
	v_fma_f64 v[26:27], -0.5, v[26:27], v[120:121]
	v_add_f64 v[34:35], v[36:37], -v[8:9]
	v_add_f64 v[56:57], v[64:65], v[50:51]
	v_fma_f64 v[154:155], s[10:11], v[58:59], v[152:153]
	v_add_f64 v[60:61], v[38:39], -v[82:83]
	v_fmac_f64_e32 v[158:159], s[14:15], v[76:77]
	v_add_f64 v[22:23], v[22:23], v[80:81]
	v_fma_f64 v[46:47], s[10:11], v[34:35], v[26:27]
	v_add_f64 v[54:55], v[70:71], -v[18:19]
	v_add_f64 v[56:57], v[56:57], v[28:29]
	v_fmac_f64_e32 v[154:155], s[2:3], v[60:61]
	v_fmac_f64_e32 v[158:159], s[4:5], v[20:21]
	v_add_f64 v[22:23], v[22:23], v[86:87]
	v_fmac_f64_e32 v[46:47], s[2:3], v[54:55]
	v_add_f64 v[56:57], v[56:57], v[12:13]
	v_fmac_f64_e32 v[154:155], s[4:5], v[16:17]
	v_mul_f64 v[78:79], v[158:159], s[2:3]
	v_add_f64 v[22:23], v[22:23], v[92:93]
	v_fmac_f64_e32 v[46:47], s[4:5], v[2:3]
	v_add_f64 v[56:57], v[56:57], v[14:15]
	v_fmac_f64_e32 v[78:79], s[18:19], v[154:155]
	v_add_f64 v[160:161], v[22:23], v[56:57]
	v_add_f64 v[176:177], v[46:47], v[78:79]
	ds_write2_b64 v213, v[160:161], v[176:177] offset1:30
	v_add_f64 v[160:161], v[68:69], v[92:93]
	v_fmac_f64_e32 v[120:121], -0.5, v[160:161]
	v_add_f64 v[160:161], v[80:81], -v[68:69]
	v_add_f64 v[176:177], v[86:87], -v[92:93]
	v_add_f64 v[160:161], v[160:161], v[176:177]
	v_fma_f64 v[176:177], s[12:13], v[54:55], v[120:121]
	v_fmac_f64_e32 v[120:121], s[10:11], v[54:55]
	v_fmac_f64_e32 v[176:177], s[2:3], v[34:35]
	;; [unrolled: 1-line block ×5, first 2 shown]
	v_add_f64 v[160:161], v[50:51], v[14:15]
	v_fmac_f64_e32 v[64:65], -0.5, v[160:161]
	v_add_f64 v[28:29], v[28:29], -v[50:51]
	v_add_f64 v[12:13], v[12:13], -v[14:15]
	v_fma_f64 v[160:161], s[12:13], v[60:61], v[64:65]
	v_fmac_f64_e32 v[64:65], s[10:11], v[60:61]
	v_add_f64 v[12:13], v[28:29], v[12:13]
	v_fmac_f64_e32 v[160:161], s[2:3], v[58:59]
	v_fmac_f64_e32 v[64:65], s[14:15], v[58:59]
	;; [unrolled: 1-line block ×4, first 2 shown]
	v_add_f64 v[12:13], v[32:33], v[88:89]
	v_add_f64 v[182:183], v[66:67], v[32:33]
	v_fmac_f64_e32 v[66:67], -0.5, v[12:13]
	v_fmac_f64_e32 v[156:157], s[10:11], v[62:63]
	v_add_f64 v[12:13], v[38:39], -v[32:33]
	v_add_f64 v[14:15], v[82:83], -v[88:89]
	v_fma_f64 v[194:195], s[10:11], v[76:77], v[66:67]
	v_fmac_f64_e32 v[152:153], s[12:13], v[58:59]
	v_fmac_f64_e32 v[156:157], s[2:3], v[76:77]
	v_add_f64 v[12:13], v[12:13], v[14:15]
	v_fmac_f64_e32 v[194:195], s[14:15], v[62:63]
	v_fmac_f64_e32 v[66:67], s[12:13], v[76:77]
	;; [unrolled: 1-line block ×9, first 2 shown]
	v_mul_f64 v[16:17], v[156:157], s[2:3]
	v_fmac_f64_e32 v[66:67], s[4:5], v[12:13]
	v_mul_f64 v[12:13], v[194:195], s[10:11]
	v_fmac_f64_e32 v[26:27], s[4:5], v[2:3]
	v_fmac_f64_e32 v[16:17], s[20:21], v[152:153]
	v_mul_f64 v[200:201], v[222:223], s[18:19]
	v_fmac_f64_e32 v[12:13], s[4:5], v[160:161]
	v_mul_f64 v[14:15], v[66:67], s[10:11]
	v_add_f64 v[2:3], v[22:23], -v[56:57]
	v_add_f64 v[20:21], v[26:27], v[16:17]
	v_fmac_f64_e32 v[200:201], s[14:15], v[0:1]
	v_add_f64 v[0:1], v[4:5], v[112:113]
	v_fmac_f64_e32 v[14:15], s[16:17], v[64:65]
	v_add_f64 v[28:29], v[176:177], v[12:13]
	ds_write2_b64 v213, v[20:21], v[2:3] offset0:120 offset1:150
	v_add_f64 v[2:3], v[46:47], -v[78:79]
	v_add_f64 v[12:13], v[176:177], -v[12:13]
	v_add_f64 v[0:1], v[0:1], v[142:143]
	ds_write2_b64 v213, v[2:3], v[12:13] offset0:180 offset1:210
	v_add_f64 v[2:3], v[120:121], -v[14:15]
	v_add_f64 v[12:13], v[26:27], -v[16:17]
	v_add_u32_e32 v214, 0x400, v213
	v_add_f64 v[0:1], v[0:1], v[144:145]
	ds_write2_b64 v214, v[2:3], v[12:13] offset0:112 offset1:142
	v_add_f64 v[2:3], v[112:113], -v[142:143]
	v_add_f64 v[12:13], v[148:149], -v[144:145]
	v_add_f64 v[202:203], v[0:1], v[148:149]
	v_add_f64 v[0:1], v[142:143], v[144:145]
	v_add_f64 v[142:143], v[142:143], -v[112:113]
	v_add_f64 v[112:113], v[112:113], v[148:149]
	v_add_f64 v[150:151], v[150:151], -v[52:53]
	v_add_f64 v[196:197], v[2:3], v[12:13]
	v_add_f64 v[2:3], v[40:41], v[30:31]
	v_fma_f64 v[204:205], -0.5, v[0:1], v[4:5]
	v_fma_f64 v[4:5], -0.5, v[112:113], v[4:5]
	v_add_f64 v[32:33], v[120:121], v[14:15]
	v_add_f64 v[120:121], v[44:45], -v[48:49]
	v_add_f64 v[2:3], v[2:3], v[24:25]
	v_add_f64 v[144:145], v[144:145], -v[148:149]
	v_fma_f64 v[112:113], s[10:11], v[150:151], v[4:5]
	v_fmac_f64_e32 v[4:5], s[12:13], v[150:151]
	ds_write2_b64 v213, v[28:29], v[32:33] offset0:60 offset1:90
	v_add_f64 v[198:199], v[2:3], v[10:11]
	s_waitcnt lgkmcnt(0)
	s_barrier
	ds_read_b64 v[176:177], v185
	ds_read_b64 v[180:181], v186
	;; [unrolled: 1-line block ×4, first 2 shown]
	ds_read2_b64 v[0:3], v188 offset1:100
	ds_read2_b64 v[24:27], v168 offset0:48 offset1:148
	ds_read2_b64 v[10:13], v171 offset0:120 offset1:220
	;; [unrolled: 1-line block ×12, first 2 shown]
	v_add_f64 v[142:143], v[142:143], v[144:145]
	v_fmac_f64_e32 v[112:113], s[14:15], v[120:121]
	v_fmac_f64_e32 v[4:5], s[2:3], v[120:121]
	v_mul_f64 v[126:127], v[126:127], s[4:5]
	v_mul_f64 v[110:111], v[110:111], s[16:17]
	v_fmac_f64_e32 v[112:113], s[4:5], v[142:143]
	v_fmac_f64_e32 v[4:5], s[4:5], v[142:143]
	;; [unrolled: 1-line block ×4, first 2 shown]
	v_fma_f64 v[206:207], s[12:13], v[120:121], v[204:205]
	v_add_f64 v[108:109], v[112:113], v[126:127]
	v_add_f64 v[118:119], v[4:5], v[110:111]
	v_fmac_f64_e32 v[204:205], s[10:11], v[120:121]
	s_waitcnt lgkmcnt(0)
	s_barrier
	ds_write2_b64 v230, v[108:109], v[118:119] offset0:60 offset1:90
	v_fmac_f64_e32 v[204:205], s[2:3], v[150:151]
	v_mul_f64 v[108:109], v[116:117], s[20:21]
	v_fmac_f64_e32 v[206:207], s[14:15], v[150:151]
	v_fmac_f64_e32 v[204:205], s[4:5], v[196:197]
	;; [unrolled: 1-line block ×4, first 2 shown]
	v_add_f64 v[114:115], v[202:203], -v[198:199]
	v_add_f64 v[116:117], v[204:205], v[108:109]
	ds_write2_b64 v230, v[116:117], v[114:115] offset0:120 offset1:150
	v_add_f64 v[114:115], v[206:207], -v[200:201]
	v_add_f64 v[112:113], v[112:113], -v[126:127]
	ds_write2_b64 v230, v[114:115], v[112:113] offset0:180 offset1:210
	v_add_f64 v[4:5], v[4:5], -v[110:111]
	v_add_f64 v[108:109], v[204:205], -v[108:109]
	v_add_f64 v[110:111], v[130:131], v[72:73]
	v_add_f64 v[112:113], v[6:7], v[84:85]
	;; [unrolled: 1-line block ×3, first 2 shown]
	v_add_f64 v[68:69], v[68:69], -v[92:93]
	v_add_f64 v[80:81], v[80:81], -v[86:87]
	;; [unrolled: 1-line block ×4, first 2 shown]
	ds_write2_b64 v210, v[4:5], v[108:109] offset0:112 offset1:142
	v_add_f64 v[108:109], v[132:133], -v[134:135]
	v_fma_f64 v[110:111], -0.5, v[110:111], v[6:7]
	v_fmac_f64_e32 v[6:7], -0.5, v[114:115]
	v_add_f64 v[112:113], v[112:113], v[130:131]
	v_add_f64 v[86:87], v[86:87], v[92:93]
	;; [unrolled: 1-line block ×3, first 2 shown]
	v_add_f64 v[4:5], v[146:147], -v[140:141]
	v_fma_f64 v[118:119], s[10:11], v[108:109], v[6:7]
	v_fmac_f64_e32 v[6:7], s[12:13], v[108:109]
	v_add_f64 v[112:113], v[112:113], v[72:73]
	v_fma_f64 v[92:93], -0.5, v[92:93], v[98:99]
	v_add_f64 v[116:117], v[72:73], -v[74:75]
	v_fmac_f64_e32 v[6:7], s[2:3], v[4:5]
	v_add_f64 v[112:113], v[112:113], v[74:75]
	v_add_f64 v[72:73], v[74:75], -v[72:73]
	v_fma_f64 v[74:75], s[12:13], v[4:5], v[110:111]
	v_fmac_f64_e32 v[110:111], s[10:11], v[4:5]
	v_fmac_f64_e32 v[118:119], s[14:15], v[4:5]
	v_add_f64 v[4:5], v[102:103], v[90:91]
	v_mul_f64 v[90:91], v[100:101], s[20:21]
	v_fma_f64 v[100:101], s[12:13], v[68:69], v[92:93]
	v_fmac_f64_e32 v[92:93], s[10:11], v[68:69]
	v_fmac_f64_e32 v[100:101], s[14:15], v[80:81]
	;; [unrolled: 1-line block ×5, first 2 shown]
	v_add_f64 v[86:87], v[98:99], v[36:37]
	v_add_f64 v[102:103], v[36:37], v[8:9]
	;; [unrolled: 1-line block ×3, first 2 shown]
	v_fmac_f64_e32 v[98:99], -0.5, v[102:103]
	v_add_f64 v[36:37], v[70:71], -v[36:37]
	v_add_f64 v[70:71], v[86:87], v[18:19]
	v_add_f64 v[114:115], v[130:131], -v[84:85]
	v_add_f64 v[84:85], v[84:85], -v[130:131]
	v_add_f64 v[70:71], v[70:71], v[8:9]
	v_add_f64 v[8:9], v[18:19], -v[8:9]
	v_fma_f64 v[18:19], s[10:11], v[80:81], v[98:99]
	v_fmac_f64_e32 v[98:99], s[12:13], v[80:81]
	v_add_f64 v[72:73], v[84:85], v[72:73]
	v_fmac_f64_e32 v[74:75], s[14:15], v[108:109]
	v_fmac_f64_e32 v[110:111], s[2:3], v[108:109]
	v_add_f64 v[8:9], v[36:37], v[8:9]
	v_fmac_f64_e32 v[18:19], s[14:15], v[68:69]
	v_fmac_f64_e32 v[98:99], s[2:3], v[68:69]
	;; [unrolled: 1-line block ×4, first 2 shown]
	v_add_f64 v[4:5], v[4:5], v[94:95]
	v_mul_f64 v[72:73], v[128:129], s[18:19]
	v_fmac_f64_e32 v[18:19], s[4:5], v[8:9]
	v_fmac_f64_e32 v[98:99], s[4:5], v[8:9]
	v_add_f64 v[8:9], v[182:183], v[38:39]
	v_mul_f64 v[66:67], v[66:67], s[16:17]
	v_add_f64 v[114:115], v[114:115], v[116:117]
	v_mul_f64 v[116:117], v[138:139], s[16:17]
	v_add_f64 v[4:5], v[4:5], v[96:97]
	v_fmac_f64_e32 v[72:73], s[14:15], v[122:123]
	v_mul_f64 v[84:85], v[106:107], s[4:5]
	v_add_f64 v[8:9], v[8:9], v[82:83]
	v_mul_f64 v[36:37], v[158:159], s[18:19]
	v_mul_f64 v[38:39], v[194:195], s[4:5]
	v_fmac_f64_e32 v[66:67], s[12:13], v[64:65]
	v_mul_f64 v[64:65], v[156:157], s[20:21]
	v_add_f64 v[174:175], v[202:203], v[198:199]
	v_add_f64 v[208:209], v[206:207], v[200:201]
	v_fmac_f64_e32 v[116:117], s[12:13], v[136:137]
	v_fmac_f64_e32 v[6:7], s[4:5], v[114:115]
	;; [unrolled: 1-line block ×5, first 2 shown]
	v_add_f64 v[42:43], v[112:113], v[4:5]
	v_add_f64 v[94:95], v[74:75], v[72:73]
	;; [unrolled: 1-line block ×3, first 2 shown]
	v_fmac_f64_e32 v[36:37], s[14:15], v[154:155]
	v_fmac_f64_e32 v[38:39], s[12:13], v[160:161]
	v_fmac_f64_e32 v[64:65], s[14:15], v[152:153]
	ds_write2_b64 v230, v[174:175], v[208:209] offset1:30
	v_add_f64 v[120:121], v[6:7], v[116:117]
	v_add_f64 v[6:7], v[6:7], -v[116:117]
	v_add_f64 v[4:5], v[112:113], -v[4:5]
	;; [unrolled: 1-line block ×3, first 2 shown]
	v_add_f64 v[74:75], v[118:119], v[84:85]
	v_add_f64 v[84:85], v[118:119], -v[84:85]
	v_add_f64 v[96:97], v[110:111], v[90:91]
	v_add_f64 v[90:91], v[110:111], -v[90:91]
	;; [unrolled: 2-line block ×7, first 2 shown]
	ds_write2_b64 v211, v[42:43], v[94:95] offset1:30
	ds_write2_b64 v211, v[74:75], v[120:121] offset0:60 offset1:90
	ds_write2_b64 v211, v[96:97], v[4:5] offset0:120 offset1:150
	;; [unrolled: 1-line block ×4, first 2 shown]
	ds_write2_b64 v213, v[68:69], v[70:71] offset1:30
	ds_write2_b64 v213, v[80:81], v[38:39] offset0:60 offset1:90
	ds_write2_b64 v213, v[82:83], v[8:9] offset0:120 offset1:150
	ds_write2_b64 v213, v[36:37], v[18:19] offset0:180 offset1:210
	ds_write2_b64 v214, v[66:67], v[64:65] offset0:112 offset1:142
	s_waitcnt lgkmcnt(0)
	s_barrier
	s_and_saveexec_b64 s[24:25], s[0:1]
	s_cbranch_execz .LBB0_15
; %bb.14:
	v_mul_u32_u24_e32 v4, 9, v164
	v_lshlrev_b32_e32 v174, 4, v4
	v_mov_b32_e32 v175, 0
	v_lshl_add_u64 v[4:5], s[8:9], 0, v[174:175]
	s_mov_b64 s[24:25], 0x1220
	v_lshl_add_u64 v[18:19], v[4:5], 0, s[24:25]
	s_mov_b64 s[0:1], 0x1260
	global_load_dwordx4 v[6:9], v[18:19], off offset:16
	v_lshl_add_u64 v[42:43], v[4:5], 0, s[0:1]
	global_load_dwordx4 v[36:39], v[42:43], off offset:48
	global_load_dwordx4 v[90:93], v[42:43], off offset:16
	;; [unrolled: 1-line block ×5, first 2 shown]
	v_add_co_u32_e32 v4, vcc, 0x1000, v4
	v_mul_lo_u32 v18, s22, v125
	s_nop 0
	v_addc_co_u32_e32 v5, vcc, 0, v5, vcc
	global_load_dwordx4 v[134:137], v[4:5], off offset:608
	global_load_dwordx4 v[138:141], v[4:5], off offset:672
	;; [unrolled: 1-line block ×3, first 2 shown]
	v_mul_i32_i24_e32 v4, 0xffffffb8, v164
	ds_read2_b64 v[114:117], v193 offset0:60 offset1:160
	ds_read2_b64 v[64:67], v171 offset0:120 offset1:220
	;; [unrolled: 1-line block ×9, first 2 shown]
	v_add_u32_e32 v4, v163, v4
	v_mul_lo_u32 v5, s23, v124
	v_mad_u64_u32 v[182:183], s[22:23], s22, v124, 0
	ds_read_b64 v[122:123], v4
	v_add3_u32 v183, v183, v18, v5
	s_movk_i32 s22, 0x1000
	s_waitcnt vmcnt(7)
	v_mul_f64 v[18:19], v[20:21], v[38:39]
	s_waitcnt vmcnt(6)
	v_mul_f64 v[42:43], v[14:15], v[92:93]
	v_mul_f64 v[4:5], v[78:79], v[8:9]
	s_waitcnt lgkmcnt(9)
	v_mul_f64 v[86:87], v[116:117], v[8:9]
	s_waitcnt lgkmcnt(6)
	v_mul_f64 v[88:89], v[68:69], v[92:93]
	s_waitcnt vmcnt(5) lgkmcnt(5)
	v_mul_f64 v[84:85], v[120:121], v[100:101]
	v_fma_f64 v[4:5], v[6:7], v[116:117], -v[4:5]
	s_waitcnt vmcnt(3)
	v_mul_f64 v[116:117], v[10:11], v[132:133]
	v_mul_f64 v[80:81], v[72:73], v[38:39]
	s_waitcnt lgkmcnt(2)
	v_mul_f64 v[82:83], v[128:129], v[108:109]
	v_mul_f64 v[38:39], v[58:59], v[120:121]
	;; [unrolled: 1-line block ×3, first 2 shown]
	v_fma_f64 v[92:93], v[36:37], v[72:73], -v[18:19]
	v_fma_f64 v[8:9], v[90:91], v[68:69], -v[42:43]
	v_fmac_f64_e32 v[86:87], v[78:79], v[6:7]
	v_mul_f64 v[68:69], v[64:65], v[132:133]
	v_fmac_f64_e32 v[88:89], v[14:15], v[90:91]
	v_fmac_f64_e32 v[84:85], v[58:59], v[118:119]
	s_waitcnt vmcnt(2)
	v_mul_f64 v[58:59], v[136:137], v[96:97]
	s_waitcnt vmcnt(1)
	v_mul_f64 v[14:15], v[140:141], v[112:113]
	v_mul_f64 v[6:7], v[62:63], v[140:141]
	v_mul_f64 v[18:19], v[54:55], v[136:137]
	v_fma_f64 v[116:117], v[130:131], v[64:65], -v[116:117]
	v_fmac_f64_e32 v[80:81], v[20:21], v[36:37]
	v_fmac_f64_e32 v[82:83], v[50:51], v[126:127]
	v_fma_f64 v[42:43], v[118:119], v[100:101], -v[38:39]
	v_add_f64 v[20:21], v[92:93], -v[8:9]
	v_fmac_f64_e32 v[68:69], v[10:11], v[130:131]
	v_fmac_f64_e32 v[58:59], v[54:55], v[134:135]
	;; [unrolled: 1-line block ×3, first 2 shown]
	v_fma_f64 v[112:113], v[138:139], v[112:113], -v[6:7]
	v_fma_f64 v[120:121], v[134:135], v[96:97], -v[18:19]
	v_add_f64 v[6:7], v[4:5], -v[116:117]
	v_add_f64 v[10:11], v[116:117], v[8:9]
	v_fma_f64 v[124:125], v[126:127], v[108:109], -v[124:125]
	v_add_f64 v[18:19], v[84:85], -v[58:59]
	v_add_f64 v[36:37], v[14:15], -v[82:83]
	v_add_f64 v[132:133], v[6:7], v[20:21]
	s_waitcnt lgkmcnt(0)
	v_fma_f64 v[54:55], -0.5, v[10:11], v[122:123]
	v_add_f64 v[6:7], v[42:43], -v[120:121]
	v_add_f64 v[10:11], v[112:113], -v[124:125]
	v_add_f64 v[134:135], v[18:19], v[36:37]
	v_add_f64 v[146:147], v[6:7], v[10:11]
	v_add_f64 v[10:11], v[116:117], -v[4:5]
	v_add_f64 v[18:19], v[8:9], -v[92:93]
	v_add_f64 v[20:21], v[10:11], v[18:19]
	v_add_f64 v[10:11], v[4:5], v[92:93]
	s_waitcnt vmcnt(0)
	v_mul_f64 v[50:51], v[144:145], v[104:105]
	v_add_f64 v[128:129], v[68:69], -v[88:89]
	v_fma_f64 v[72:73], -0.5, v[10:11], v[122:123]
	v_add_f64 v[10:11], v[58:59], -v[84:85]
	v_add_f64 v[18:19], v[82:83], -v[14:15]
	;; [unrolled: 1-line block ×3, first 2 shown]
	v_fmac_f64_e32 v[50:51], v[46:47], v[142:143]
	v_add_f64 v[62:63], v[58:59], v[82:83]
	v_fma_f64 v[78:79], s[12:13], v[128:129], v[72:73]
	v_add_f64 v[108:109], v[10:11], v[18:19]
	v_add_f64 v[10:11], v[84:85], v[14:15]
	v_fmac_f64_e32 v[72:73], s[10:11], v[128:129]
	v_fma_f64 v[36:37], -0.5, v[62:63], v[50:51]
	v_fma_f64 v[62:63], s[10:11], v[38:39], v[54:55]
	v_mul_f64 v[6:7], v[46:47], v[144:145]
	v_fmac_f64_e32 v[78:79], s[2:3], v[38:39]
	v_fma_f64 v[18:19], -0.5, v[10:11], v[50:51]
	v_add_f64 v[10:11], v[120:121], -v[42:43]
	v_add_f64 v[90:91], v[124:125], -v[112:113]
	v_fmac_f64_e32 v[72:73], s[14:15], v[38:39]
	v_fmac_f64_e32 v[54:55], s[12:13], v[38:39]
	v_mul_u32_u24_e32 v38, 9, v162
	v_fma_f64 v[144:145], v[142:143], v[104:105], -v[6:7]
	v_add_f64 v[138:139], v[10:11], v[90:91]
	v_add_f64 v[10:11], v[42:43], v[112:113]
	v_lshlrev_b32_e32 v174, 4, v38
	v_add_f64 v[130:131], v[42:43], -v[112:113]
	v_add_f64 v[6:7], v[120:121], v[124:125]
	v_add_f64 v[150:151], v[58:59], -v[82:83]
	v_fma_f64 v[100:101], -0.5, v[10:11], v[144:145]
	v_lshl_add_u64 v[152:153], s[8:9], 0, v[174:175]
	v_fma_f64 v[118:119], s[12:13], v[130:131], v[36:37]
	v_add_f64 v[136:137], v[120:121], -v[124:125]
	v_fma_f64 v[64:65], -0.5, v[6:7], v[144:145]
	v_add_f64 v[148:149], v[84:85], -v[14:15]
	v_fma_f64 v[104:105], s[12:13], v[150:151], v[100:101]
	v_fmac_f64_e32 v[100:101], s[10:11], v[150:151]
	v_fmac_f64_e32 v[36:37], s[10:11], v[130:131]
	v_add_co_u32_e32 v164, vcc, s22, v152
	v_fmac_f64_e32 v[62:63], s[2:3], v[128:129]
	v_fmac_f64_e32 v[118:119], s[14:15], v[136:137]
	v_fma_f64 v[126:127], s[10:11], v[148:149], v[64:65]
	v_fma_f64 v[96:97], s[10:11], v[136:137], v[18:19]
	v_fmac_f64_e32 v[104:105], s[2:3], v[148:149]
	v_fmac_f64_e32 v[18:19], s[12:13], v[136:137]
	;; [unrolled: 1-line block ×5, first 2 shown]
	v_lshl_add_u64 v[38:39], v[152:153], 0, s[24:25]
	v_addc_co_u32_e32 v165, vcc, 0, v153, vcc
	v_fmac_f64_e32 v[64:65], s[12:13], v[148:149]
	v_lshl_add_u64 v[152:153], v[152:153], 0, s[0:1]
	v_fmac_f64_e32 v[62:63], s[4:5], v[132:133]
	v_fmac_f64_e32 v[118:119], s[4:5], v[134:135]
	;; [unrolled: 1-line block ×9, first 2 shown]
	global_load_dwordx4 v[132:135], v[38:39], off offset:32
	global_load_dwordx4 v[140:143], v[38:39], off offset:16
	;; [unrolled: 1-line block ×4, first 2 shown]
	v_fmac_f64_e32 v[64:65], s[14:15], v[150:151]
	global_load_dwordx4 v[156:159], v[152:153], off offset:48
	global_load_dwordx4 v[148:151], v[152:153], off offset:32
	;; [unrolled: 1-line block ×3, first 2 shown]
	v_add_f64 v[42:43], v[42:43], v[144:145]
	global_load_dwordx4 v[152:155], v[164:165], off offset:608
	v_fmac_f64_e32 v[126:127], s[4:5], v[146:147]
	global_load_dwordx4 v[164:167], v[164:165], off offset:672
	v_add_f64 v[122:123], v[4:5], v[122:123]
	v_add_f64 v[42:43], v[120:121], v[42:43]
	v_mul_f64 v[46:47], v[126:127], s[20:21]
	v_add_f64 v[122:123], v[116:117], v[122:123]
	v_add_f64 v[42:43], v[124:125], v[42:43]
	v_add_f64 v[120:121], v[86:87], -v[68:69]
	v_add_f64 v[124:125], v[80:81], -v[88:89]
	v_mul_f64 v[126:127], v[126:127], s[2:3]
	v_fmac_f64_e32 v[46:47], s[14:15], v[118:119]
	v_add_f64 v[122:123], v[8:9], v[122:123]
	v_add_f64 v[120:121], v[120:121], v[124:125]
	;; [unrolled: 1-line block ×3, first 2 shown]
	v_add_f64 v[116:117], v[116:117], -v[8:9]
	v_fmac_f64_e32 v[126:127], s[20:21], v[118:119]
	v_add_f64 v[8:9], v[68:69], -v[86:87]
	v_add_f64 v[118:119], v[88:89], -v[80:81]
	v_add_f64 v[122:123], v[92:93], v[122:123]
	v_fma_f64 v[124:125], -0.5, v[124:125], v[40:41]
	v_add_f64 v[92:93], v[4:5], -v[92:93]
	v_add_f64 v[118:119], v[8:9], v[118:119]
	v_add_f64 v[8:9], v[86:87], v[80:81]
	v_fmac_f64_e32 v[96:97], s[4:5], v[108:109]
	v_mul_f64 v[90:91], v[104:105], s[16:17]
	v_fmac_f64_e32 v[64:65], s[4:5], v[146:147]
	v_fma_f64 v[144:145], s[12:13], v[92:93], v[124:125]
	v_fma_f64 v[190:191], -0.5, v[8:9], v[40:41]
	v_mul_f64 v[104:105], v[104:105], s[10:11]
	v_fmac_f64_e32 v[124:125], s[10:11], v[92:93]
	v_add_f64 v[40:41], v[40:41], v[86:87]
	v_fmac_f64_e32 v[90:91], s[12:13], v[96:97]
	v_fmac_f64_e32 v[18:19], s[4:5], v[108:109]
	v_mul_f64 v[108:109], v[100:101], s[4:5]
	v_fmac_f64_e32 v[144:145], s[14:15], v[116:117]
	v_fma_f64 v[192:193], s[10:11], v[116:117], v[190:191]
	v_fmac_f64_e32 v[104:105], s[16:17], v[96:97]
	v_fmac_f64_e32 v[190:191], s[12:13], v[116:117]
	v_mul_f64 v[96:97], v[100:101], s[10:11]
	v_fmac_f64_e32 v[124:125], s[2:3], v[116:117]
	v_mul_f64 v[100:101], v[64:65], s[2:3]
	v_add_f64 v[40:41], v[40:41], v[68:69]
	v_mul_f64 v[146:147], v[64:65], s[18:19]
	v_add_f64 v[112:113], v[112:113], v[42:43]
	v_fmac_f64_e32 v[144:145], s[4:5], v[120:121]
	v_fmac_f64_e32 v[192:193], s[14:15], v[92:93]
	;; [unrolled: 1-line block ×5, first 2 shown]
	v_add_f64 v[40:41], v[40:41], v[88:89]
	v_add_f64 v[6:7], v[62:63], -v[46:47]
	v_fmac_f64_e32 v[146:147], s[14:15], v[36:37]
	v_add_f64 v[42:43], v[122:123], -v[112:113]
	v_add_f64 v[4:5], v[144:145], -v[126:127]
	v_fmac_f64_e32 v[192:193], s[4:5], v[118:119]
	v_fmac_f64_e32 v[190:191], s[4:5], v[118:119]
	v_add_f64 v[36:37], v[124:125], -v[100:101]
	v_add_f64 v[68:69], v[80:81], v[40:41]
	v_add_f64 v[40:41], v[84:85], v[50:51]
	;; [unrolled: 1-line block ×6, first 2 shown]
	ds_read2_b64 v[116:119], v168 offset0:48 offset1:148
	ds_read2_b64 v[124:127], v169 offset0:96 offset1:196
	;; [unrolled: 1-line block ×3, first 2 shown]
	v_add_f64 v[40:41], v[58:59], v[40:41]
	v_add_f64 v[40:41], v[82:83], v[40:41]
	v_mul_u32_u24_e32 v50, 9, v184
	v_fmac_f64_e32 v[78:79], s[4:5], v[20:21]
	v_add_f64 v[38:39], v[54:55], -v[146:147]
	v_add_f64 v[14:15], v[14:15], v[40:41]
	v_add_f64 v[88:89], v[54:55], v[146:147]
	v_lshlrev_b32_e32 v174, 4, v50
	ds_read2_b64 v[144:147], v188 offset1:100
	v_add_f64 v[10:11], v[78:79], -v[90:91]
	s_waitcnt vmcnt(4)
	v_mul_f64 v[50:51], v[34:35], v[158:159]
	v_add_f64 v[40:41], v[68:69], -v[14:15]
	v_add_f64 v[80:81], v[78:79], v[90:91]
	v_add_f64 v[90:91], v[68:69], v[14:15]
	v_mul_f64 v[14:15], v[76:77], v[142:143]
	v_mul_f64 v[46:47], v[26:27], v[138:139]
	s_waitcnt lgkmcnt(2)
	v_fma_f64 v[112:113], v[156:157], v[126:127], -v[50:51]
	s_waitcnt vmcnt(2)
	v_mul_f64 v[50:51], v[30:31], v[162:163]
	v_fma_f64 v[14:15], v[140:141], v[114:115], -v[14:15]
	v_fma_f64 v[68:69], v[136:137], v[118:119], -v[46:47]
	s_waitcnt lgkmcnt(1)
	v_fma_f64 v[188:189], v[160:161], v[122:123], -v[50:51]
	v_mul_f64 v[100:101], v[114:115], v[142:143]
	v_mul_f64 v[114:115], v[118:119], v[138:139]
	v_add_f64 v[46:47], v[14:15], -v[68:69]
	v_add_f64 v[50:51], v[112:113], -v[188:189]
	v_fmac_f64_e32 v[100:101], v[76:77], v[140:141]
	v_mul_f64 v[76:77], v[126:127], v[158:159]
	v_fmac_f64_e32 v[114:115], v[26:27], v[136:137]
	v_mul_f64 v[26:27], v[122:123], v[162:163]
	v_mul_f64 v[118:119], v[134:135], v[98:99]
	s_waitcnt vmcnt(1)
	v_mul_f64 v[122:123], v[154:155], v[94:95]
	s_waitcnt vmcnt(0)
	v_mul_f64 v[126:127], v[166:167], v[110:111]
	v_mul_f64 v[142:143], v[150:151], v[106:107]
	v_fmac_f64_e32 v[72:73], s[4:5], v[20:21]
	v_fmac_f64_e32 v[108:109], s[12:13], v[18:19]
	;; [unrolled: 1-line block ×3, first 2 shown]
	v_add_f64 v[58:59], v[46:47], v[50:51]
	v_add_f64 v[46:47], v[68:69], v[188:189]
	v_fmac_f64_e32 v[118:119], v[56:57], v[132:133]
	v_fmac_f64_e32 v[122:123], v[52:53], v[152:153]
	;; [unrolled: 1-line block ×4, first 2 shown]
	v_add_f64 v[20:21], v[72:73], -v[108:109]
	v_add_f64 v[18:19], v[190:191], -v[96:97]
	v_add_f64 v[84:85], v[72:73], v[108:109]
	v_add_f64 v[82:83], v[190:191], v[96:97]
	s_waitcnt lgkmcnt(0)
	v_fma_f64 v[72:73], -0.5, v[46:47], v[146:147]
	v_add_f64 v[46:47], v[118:119], -v[122:123]
	v_add_f64 v[50:51], v[126:127], -v[142:143]
	v_mul_f64 v[190:191], v[130:131], v[102:103]
	v_add_f64 v[136:137], v[46:47], v[50:51]
	v_fmac_f64_e32 v[190:191], v[44:45], v[128:129]
	v_add_f64 v[46:47], v[122:123], v[142:143]
	v_add_f64 v[8:9], v[192:193], -v[104:105]
	v_add_f64 v[78:79], v[192:193], v[104:105]
	v_fma_f64 v[192:193], -0.5, v[46:47], v[190:191]
	v_mul_f64 v[46:47], v[56:57], v[134:135]
	v_fma_f64 v[56:57], v[132:133], v[98:99], -v[46:47]
	v_mul_f64 v[46:47], v[60:61], v[166:167]
	v_fma_f64 v[60:61], v[164:165], v[110:111], -v[46:47]
	v_mul_f64 v[46:47], v[52:53], v[154:155]
	v_fma_f64 v[52:53], v[152:153], v[94:95], -v[46:47]
	v_mul_f64 v[46:47], v[48:49], v[150:151]
	v_fma_f64 v[48:49], v[148:149], v[106:107], -v[46:47]
	v_add_f64 v[46:47], v[56:57], -v[52:53]
	v_add_f64 v[50:51], v[60:61], -v[48:49]
	v_add_f64 v[106:107], v[46:47], v[50:51]
	v_add_f64 v[50:51], v[68:69], -v[14:15]
	v_add_f64 v[54:55], v[188:189], -v[112:113]
	v_add_f64 v[54:55], v[50:51], v[54:55]
	v_add_f64 v[50:51], v[14:15], v[112:113]
	v_fma_f64 v[194:195], -0.5, v[50:51], v[146:147]
	v_add_f64 v[50:51], v[122:123], -v[118:119]
	v_add_f64 v[132:133], v[142:143], -v[126:127]
	v_add_f64 v[132:133], v[50:51], v[132:133]
	v_add_f64 v[50:51], v[118:119], v[126:127]
	v_mul_f64 v[44:45], v[44:45], v[130:131]
	v_fma_f64 v[198:199], -0.5, v[50:51], v[190:191]
	v_add_f64 v[50:51], v[52:53], -v[56:57]
	v_add_f64 v[134:135], v[48:49], -v[60:61]
	v_fma_f64 v[44:45], v[128:129], v[102:103], -v[44:45]
	v_add_f64 v[46:47], v[52:53], v[48:49]
	v_add_f64 v[134:135], v[50:51], v[134:135]
	;; [unrolled: 1-line block ×3, first 2 shown]
	v_fma_f64 v[102:103], -0.5, v[46:47], v[44:45]
	v_fma_f64 v[202:203], -0.5, v[50:51], v[44:45]
	v_add_f64 v[44:45], v[56:57], v[44:45]
	v_add_f64 v[44:45], v[52:53], v[44:45]
	v_fmac_f64_e32 v[76:77], v[34:35], v[156:157]
	v_fmac_f64_e32 v[26:27], v[30:31], v[160:161]
	v_add_f64 v[94:95], v[52:53], -v[48:49]
	v_add_f64 v[44:45], v[48:49], v[44:45]
	v_lshl_add_u64 v[104:105], s[8:9], 0, v[174:175]
	v_add_f64 v[98:99], v[56:57], -v[60:61]
	v_add_f64 v[128:129], v[118:119], -v[126:127]
	;; [unrolled: 1-line block ×3, first 2 shown]
	v_fma_f64 v[200:201], s[10:11], v[94:95], v[198:199]
	v_fmac_f64_e32 v[198:199], s[12:13], v[94:95]
	v_add_f64 v[60:61], v[60:61], v[44:45]
	v_add_f64 v[44:45], v[100:101], -v[114:115]
	v_add_f64 v[48:49], v[76:77], -v[26:27]
	v_lshl_add_u64 v[108:109], v[104:105], 0, s[24:25]
	v_fma_f64 v[110:111], s[12:13], v[98:99], v[192:193]
	v_fma_f64 v[158:159], s[10:11], v[128:129], v[102:103]
	v_fmac_f64_e32 v[200:201], s[14:15], v[98:99]
	v_fma_f64 v[204:205], s[12:13], v[130:131], v[202:203]
	v_fmac_f64_e32 v[198:199], s[2:3], v[98:99]
	v_fmac_f64_e32 v[202:203], s[10:11], v[130:131]
	;; [unrolled: 1-line block ×4, first 2 shown]
	v_add_f64 v[56:57], v[44:45], v[48:49]
	v_add_f64 v[44:45], v[114:115], v[26:27]
	global_load_dwordx4 v[168:171], v[108:109], off offset:16
	v_fmac_f64_e32 v[110:111], s[14:15], v[94:95]
	v_fmac_f64_e32 v[158:159], s[2:3], v[130:131]
	;; [unrolled: 1-line block ×8, first 2 shown]
	global_load_dwordx4 v[130:133], v[108:109], off offset:48
	v_add_f64 v[94:95], v[14:15], v[146:147]
	v_lshl_add_u64 v[98:99], v[104:105], 0, s[0:1]
	v_fma_f64 v[210:211], -0.5, v[44:45], v[2:3]
	v_add_co_u32_e32 v44, vcc, s22, v104
	v_fmac_f64_e32 v[110:111], s[4:5], v[136:137]
	v_fmac_f64_e32 v[158:159], s[4:5], v[106:107]
	;; [unrolled: 1-line block ×5, first 2 shown]
	v_add_f64 v[94:95], v[68:69], v[94:95]
	global_load_dwordx4 v[134:137], v[98:99], off offset:48
	global_load_dwordx4 v[138:141], v[98:99], off offset:16
	v_addc_co_u32_e32 v45, vcc, 0, v105, vcc
	v_mul_f64 v[166:167], v[158:159], s[20:21]
	v_add_f64 v[94:95], v[188:189], v[94:95]
	v_add_f64 v[68:69], v[68:69], -v[188:189]
	global_load_dwordx4 v[146:149], v[108:109], off offset:32
	global_load_dwordx4 v[150:153], v[44:45], off offset:544
	;; [unrolled: 1-line block ×3, first 2 shown]
	v_mul_f64 v[188:189], v[158:159], s[2:3]
	global_load_dwordx4 v[158:161], v[44:45], off offset:672
	global_load_dwordx4 v[162:165], v[98:99], off offset:32
	v_add_f64 v[48:49], v[114:115], -v[100:101]
	v_add_f64 v[52:53], v[26:27], -v[76:77]
	v_add_f64 v[52:53], v[48:49], v[52:53]
	v_add_f64 v[48:49], v[100:101], v[76:77]
	v_fmac_f64_e32 v[166:167], s[14:15], v[110:111]
	v_fmac_f64_e32 v[188:189], s[20:21], v[110:111]
	v_fma_f64 v[110:111], -0.5, v[48:49], v[2:3]
	v_add_f64 v[2:3], v[2:3], v[100:101]
	v_add_f64 v[2:3], v[2:3], v[114:115]
	v_add_f64 v[96:97], v[100:101], -v[76:77]
	v_add_f64 v[30:31], v[114:115], -v[26:27]
	;; [unrolled: 1-line block ×3, first 2 shown]
	v_add_f64 v[2:3], v[2:3], v[26:27]
	v_add_f64 v[26:27], v[118:119], v[190:191]
	v_fma_f64 v[34:35], s[10:11], v[96:97], v[72:73]
	v_mul_f64 v[206:207], v[204:205], s[16:17]
	v_fmac_f64_e32 v[72:73], s[12:13], v[96:97]
	v_fmac_f64_e32 v[102:103], s[4:5], v[106:107]
	v_fma_f64 v[212:213], s[12:13], v[14:15], v[210:211]
	v_fma_f64 v[214:215], s[10:11], v[68:69], v[110:111]
	v_mul_f64 v[204:205], v[204:205], s[10:11]
	v_fmac_f64_e32 v[110:111], s[12:13], v[68:69]
	v_fmac_f64_e32 v[210:211], s[10:11], v[14:15]
	v_add_f64 v[26:27], v[122:123], v[26:27]
	v_fmac_f64_e32 v[34:35], s[2:3], v[30:31]
	v_fma_f64 v[196:197], s[12:13], v[30:31], v[194:195]
	v_fmac_f64_e32 v[206:207], s[12:13], v[200:201]
	v_fmac_f64_e32 v[194:195], s[10:11], v[30:31]
	;; [unrolled: 1-line block ×3, first 2 shown]
	v_mul_f64 v[30:31], v[102:103], s[18:19]
	v_fmac_f64_e32 v[214:215], s[14:15], v[14:15]
	v_fmac_f64_e32 v[204:205], s[16:17], v[200:201]
	v_fmac_f64_e32 v[110:111], s[2:3], v[14:15]
	v_mul_f64 v[200:201], v[202:203], s[10:11]
	v_fmac_f64_e32 v[210:211], s[2:3], v[68:69]
	v_mul_f64 v[14:15], v[102:103], s[2:3]
	v_add_f64 v[26:27], v[142:143], v[26:27]
	v_fmac_f64_e32 v[72:73], s[4:5], v[58:59]
	v_fmac_f64_e32 v[30:31], s[14:15], v[192:193]
	v_add_f64 v[106:107], v[112:113], v[94:95]
	v_fmac_f64_e32 v[212:213], s[14:15], v[68:69]
	v_fmac_f64_e32 v[110:111], s[4:5], v[52:53]
	v_fmac_f64_e32 v[200:201], s[4:5], v[198:199]
	v_fmac_f64_e32 v[210:211], s[4:5], v[56:57]
	v_fmac_f64_e32 v[14:15], s[18:19], v[192:193]
	v_add_f64 v[2:3], v[76:77], v[2:3]
	v_add_f64 v[26:27], v[126:127], v[26:27]
	v_fmac_f64_e32 v[34:35], s[4:5], v[58:59]
	v_fmac_f64_e32 v[196:197], s[2:3], v[96:97]
	;; [unrolled: 1-line block ×3, first 2 shown]
	v_add_f64 v[58:59], v[72:73], -v[30:31]
	v_add_f64 v[96:97], v[106:107], -v[60:61]
	v_fmac_f64_e32 v[212:213], s[4:5], v[56:57]
	v_fmac_f64_e32 v[214:215], s[4:5], v[52:53]
	v_add_f64 v[52:53], v[110:111], -v[200:201]
	v_add_f64 v[56:57], v[210:211], -v[14:15]
	;; [unrolled: 1-line block ×3, first 2 shown]
	v_add_f64 v[112:113], v[72:73], v[30:31]
	v_add_f64 v[128:129], v[106:107], v[60:61]
	;; [unrolled: 1-line block ×4, first 2 shown]
	ds_read_b64 v[14:15], v186
	v_add_f64 v[126:127], v[2:3], v[26:27]
	ds_read_b64 v[26:27], v187
	ds_read_b64 v[30:31], v185
	v_add_f64 v[46:47], v[34:35], -v[166:167]
	v_add_f64 v[100:101], v[34:35], v[166:167]
	s_waitcnt vmcnt(7)
	v_mul_f64 v[34:35], v[24:25], v[132:133]
	v_fma_f64 v[34:35], v[130:131], v[116:117], -v[34:35]
	v_mul_f64 v[116:117], v[116:117], v[132:133]
	s_waitcnt vmcnt(6)
	v_mul_f64 v[68:69], v[32:33], v[136:137]
	v_mul_f64 v[122:123], v[124:125], v[136:137]
	v_fma_f64 v[72:73], v[134:135], v[124:125], -v[68:69]
	v_fmac_f64_e32 v[122:123], v[32:33], v[134:135]
	v_fmac_f64_e32 v[116:117], v[24:25], v[130:131]
	s_waitcnt vmcnt(4) lgkmcnt(1)
	v_mul_f64 v[130:131], v[148:149], v[26:27]
	v_mul_f64 v[2:3], v[180:181], v[170:171]
	s_waitcnt vmcnt(2)
	v_mul_f64 v[132:133], v[156:157], v[66:67]
	v_mul_f64 v[68:69], v[28:29], v[140:141]
	s_waitcnt vmcnt(1)
	v_mul_f64 v[134:135], v[160:161], v[74:75]
	s_waitcnt vmcnt(0)
	v_mul_f64 v[136:137], v[164:165], v[70:71]
	v_fmac_f64_e32 v[130:131], v[178:179], v[146:147]
	v_fmac_f64_e32 v[132:133], v[12:13], v[154:155]
	v_fmac_f64_e32 v[134:135], v[22:23], v[158:159]
	v_fmac_f64_e32 v[136:137], v[16:17], v[162:163]
	v_fma_f64 v[2:3], v[168:169], v[14:15], -v[2:3]
	v_fma_f64 v[76:77], v[138:139], v[120:121], -v[68:69]
	v_mul_f64 v[118:119], v[14:15], v[170:171]
	v_mul_f64 v[120:121], v[120:121], v[140:141]
	v_add_f64 v[14:15], v[130:131], -v[132:133]
	v_add_f64 v[24:25], v[134:135], -v[136:137]
	s_waitcnt lgkmcnt(0)
	v_mul_f64 v[140:141], v[152:153], v[30:31]
	v_fmac_f64_e32 v[120:121], v[28:29], v[138:139]
	v_add_f64 v[138:139], v[14:15], v[24:25]
	v_fmac_f64_e32 v[140:141], v[176:177], v[150:151]
	v_add_f64 v[14:15], v[132:133], v[136:137]
	v_fma_f64 v[142:143], -0.5, v[14:15], v[140:141]
	v_mul_f64 v[14:15], v[178:179], v[148:149]
	v_fma_f64 v[26:27], v[146:147], v[26:27], -v[14:15]
	v_mul_f64 v[14:15], v[22:23], v[160:161]
	v_fma_f64 v[22:23], v[158:159], v[74:75], -v[14:15]
	v_mul_f64 v[12:13], v[12:13], v[156:157]
	v_mul_f64 v[14:15], v[16:17], v[164:165]
	v_fma_f64 v[12:13], v[154:155], v[66:67], -v[12:13]
	v_fma_f64 v[16:17], v[162:163], v[70:71], -v[14:15]
	v_add_f64 v[14:15], v[26:27], -v[12:13]
	v_add_f64 v[24:25], v[22:23], -v[16:17]
	v_add_f64 v[70:71], v[14:15], v[24:25]
	v_add_f64 v[24:25], v[34:35], -v[2:3]
	v_add_f64 v[28:29], v[76:77], -v[72:73]
	v_add_f64 v[28:29], v[24:25], v[28:29]
	v_add_f64 v[24:25], v[2:3], v[72:73]
	v_fma_f64 v[158:159], -0.5, v[24:25], v[144:145]
	v_add_f64 v[24:25], v[132:133], -v[130:131]
	v_add_f64 v[162:163], v[136:137], -v[134:135]
	v_mul_f64 v[14:15], v[176:177], v[152:153]
	v_add_f64 v[162:163], v[24:25], v[162:163]
	v_add_f64 v[24:25], v[130:131], v[134:135]
	v_fmac_f64_e32 v[118:119], v[180:181], v[168:169]
	v_fma_f64 v[30:31], v[150:151], v[30:31], -v[14:15]
	v_fma_f64 v[164:165], -0.5, v[24:25], v[140:141]
	v_add_f64 v[24:25], v[12:13], -v[26:27]
	v_add_f64 v[168:169], v[16:17], -v[22:23]
	;; [unrolled: 1-line block ×3, first 2 shown]
	v_add_f64 v[14:15], v[12:13], v[16:17]
	v_add_f64 v[168:169], v[24:25], v[168:169]
	;; [unrolled: 1-line block ×4, first 2 shown]
	v_add_f64 v[66:67], v[12:13], -v[16:17]
	v_fma_f64 v[148:149], -0.5, v[14:15], v[30:31]
	v_add_f64 v[150:151], v[130:131], -v[134:135]
	v_add_f64 v[12:13], v[12:13], v[26:27]
	v_fma_f64 v[152:153], s[10:11], v[150:151], v[148:149]
	v_add_f64 v[154:155], v[132:133], -v[136:137]
	v_add_f64 v[12:13], v[16:17], v[12:13]
	v_add_f64 v[60:61], v[2:3], -v[34:35]
	v_add_f64 v[68:69], v[72:73], -v[76:77]
	v_fma_f64 v[146:147], s[12:13], v[74:75], v[142:143]
	v_fmac_f64_e32 v[152:153], s[2:3], v[154:155]
	v_fmac_f64_e32 v[142:143], s[10:11], v[74:75]
	v_add_f64 v[16:17], v[22:23], v[12:13]
	v_add_f64 v[12:13], v[118:119], -v[116:117]
	v_add_f64 v[22:23], v[122:123], -v[120:121]
	v_add_f64 v[60:61], v[60:61], v[68:69]
	v_add_f64 v[68:69], v[34:35], v[76:77]
	v_fmac_f64_e32 v[146:147], s[14:15], v[66:67]
	v_fmac_f64_e32 v[152:153], s[4:5], v[70:71]
	v_fma_f64 v[170:171], -0.5, v[24:25], v[30:31]
	v_fmac_f64_e32 v[142:143], s[2:3], v[66:67]
	v_add_f64 v[30:31], v[12:13], v[22:23]
	v_add_f64 v[12:13], v[116:117], v[120:121]
	v_add_f64 v[22:23], v[116:117], -v[118:119]
	v_add_f64 v[26:27], v[120:121], -v[122:123]
	v_fma_f64 v[114:115], -0.5, v[68:69], v[144:145]
	v_fmac_f64_e32 v[146:147], s[4:5], v[138:139]
	v_mul_f64 v[156:157], v[152:153], s[20:21]
	v_fma_f64 v[166:167], s[10:11], v[66:67], v[164:165]
	v_fmac_f64_e32 v[164:165], s[12:13], v[66:67]
	v_fmac_f64_e32 v[142:143], s[4:5], v[138:139]
	v_add_f64 v[66:67], v[2:3], v[144:145]
	v_fma_f64 v[138:139], -0.5, v[12:13], v[0:1]
	v_add_f64 v[2:3], v[2:3], -v[72:73]
	v_mul_f64 v[144:145], v[152:153], s[2:3]
	v_add_f64 v[26:27], v[22:23], v[26:27]
	v_add_f64 v[22:23], v[118:119], v[122:123]
	v_fmac_f64_e32 v[156:157], s[14:15], v[146:147]
	v_fmac_f64_e32 v[166:167], s[14:15], v[74:75]
	v_fma_f64 v[176:177], s[12:13], v[154:155], v[170:171]
	v_fmac_f64_e32 v[164:165], s[2:3], v[74:75]
	v_fmac_f64_e32 v[170:171], s[10:11], v[154:155]
	v_add_f64 v[66:67], v[34:35], v[66:67]
	v_fma_f64 v[74:75], s[12:13], v[2:3], v[138:139]
	v_add_f64 v[34:35], v[34:35], -v[76:77]
	v_fmac_f64_e32 v[144:145], s[20:21], v[146:147]
	v_fma_f64 v[146:147], -0.5, v[22:23], v[0:1]
	v_fmac_f64_e32 v[138:139], s[10:11], v[2:3]
	v_fmac_f64_e32 v[176:177], s[2:3], v[150:151]
	;; [unrolled: 1-line block ×5, first 2 shown]
	v_fma_f64 v[150:151], s[10:11], v[34:35], v[146:147]
	v_fmac_f64_e32 v[146:147], s[12:13], v[34:35]
	v_fmac_f64_e32 v[138:139], s[2:3], v[34:35]
	v_add_f64 v[0:1], v[0:1], v[118:119]
	v_add_f64 v[34:35], v[130:131], v[140:141]
	;; [unrolled: 1-line block ×6, first 2 shown]
	v_fmac_f64_e32 v[148:149], s[14:15], v[154:155]
	v_add_f64 v[66:67], v[76:77], v[66:67]
	v_add_f64 v[0:1], v[122:123], v[0:1]
	;; [unrolled: 1-line block ×3, first 2 shown]
	s_mov_b32 s0, 0x1b4e81b5
	v_add_f64 v[32:33], v[118:119], -v[122:123]
	v_fmac_f64_e32 v[148:149], s[4:5], v[70:71]
	v_add_f64 v[70:71], v[72:73], v[66:67]
	v_add_f64 v[66:67], v[0:1], -v[34:35]
	v_add_f64 v[122:123], v[0:1], v[34:35]
	v_mul_hi_u32 v0, v184, s0
	v_fmac_f64_e32 v[150:151], s[14:15], v[2:3]
	v_fmac_f64_e32 v[146:147], s[2:3], v[2:3]
	v_mul_f64 v[2:3], v[148:149], s[2:3]
	v_lshrrev_b32_e32 v0, 5, v0
	v_fmac_f64_e32 v[138:139], s[4:5], v[30:31]
	v_fmac_f64_e32 v[2:3], s[18:19], v[142:143]
	v_mul_u32_u24_e32 v0, 0x12c, v0
	v_fma_f64 v[124:125], s[10:11], v[32:33], v[114:115]
	v_add_f64 v[68:69], v[116:117], -v[120:121]
	v_fmac_f64_e32 v[114:115], s[12:13], v[32:33]
	v_fmac_f64_e32 v[74:75], s[4:5], v[30:31]
	v_add_f64 v[30:31], v[138:139], -v[2:3]
	v_add_f64 v[118:119], v[138:139], v[2:3]
	v_sub_u32_e32 v2, v184, v0
	v_lshl_add_u64 v[0:1], v[182:183], 4, s[6:7]
	v_fmac_f64_e32 v[124:125], s[2:3], v[68:69]
	v_fmac_f64_e32 v[114:115], s[14:15], v[68:69]
	v_lshl_add_u64 v[0:1], v[172:173], 4, v[0:1]
	v_lshlrev_b32_e32 v174, 4, v2
	v_fmac_f64_e32 v[124:125], s[4:5], v[60:61]
	v_fmac_f64_e32 v[114:115], s[4:5], v[60:61]
	v_mul_f64 v[60:61], v[148:149], s[18:19]
	v_lshl_add_u64 v[2:3], v[0:1], 0, v[174:175]
	v_add_f64 v[14:15], v[124:125], -v[156:157]
	v_fma_f64 v[160:161], s[12:13], v[68:69], v[158:159]
	v_fmac_f64_e32 v[158:159], s[10:11], v[68:69]
	v_fmac_f64_e32 v[170:171], s[4:5], v[168:169]
	;; [unrolled: 1-line block ×3, first 2 shown]
	v_add_f64 v[68:69], v[70:71], -v[16:17]
	v_add_f64 v[72:73], v[124:125], v[156:157]
	v_add_f64 v[124:125], v[70:71], v[16:17]
	v_add_co_u32_e32 v16, vcc, s22, v2
	v_fmac_f64_e32 v[166:167], s[4:5], v[162:163]
	v_fmac_f64_e32 v[158:159], s[14:15], v[32:33]
	;; [unrolled: 1-line block ×3, first 2 shown]
	v_mul_f64 v[162:163], v[170:171], s[4:5]
	v_mul_f64 v[154:155], v[170:171], s[10:11]
	v_add_f64 v[120:121], v[114:115], v[60:61]
	v_addc_co_u32_e32 v17, vcc, 0, v3, vcc
	s_movk_i32 s1, 0x2000
	v_fmac_f64_e32 v[176:177], s[4:5], v[168:169]
	v_fmac_f64_e32 v[158:159], s[4:5], v[28:29]
	;; [unrolled: 1-line block ×5, first 2 shown]
	global_store_dwordx4 v[16:17], v[118:121], off offset:704
	v_add_co_u32_e32 v16, vcc, s1, v2
	v_fmac_f64_e32 v[160:161], s[2:3], v[32:33]
	v_mul_f64 v[178:179], v[176:177], s[16:17]
	v_add_f64 v[32:33], v[114:115], -v[60:61]
	v_mul_f64 v[152:153], v[176:177], s[10:11]
	v_add_f64 v[116:117], v[158:159], v[162:163]
	v_add_f64 v[114:115], v[146:147], v[154:155]
	v_addc_co_u32_e32 v17, vcc, 0, v3, vcc
	v_fmac_f64_e32 v[160:161], s[4:5], v[28:29]
	v_fmac_f64_e32 v[178:179], s[12:13], v[166:167]
	;; [unrolled: 1-line block ×4, first 2 shown]
	global_store_dwordx4 v[16:17], v[114:117], off offset:1408
	v_add_co_u32_e32 v16, vcc, s28, v2
	v_add_f64 v[12:13], v[74:75], -v[144:145]
	v_add_f64 v[76:77], v[160:161], v[178:179]
	v_add_f64 v[70:71], v[74:75], v[144:145]
	;; [unrolled: 1-line block ×3, first 2 shown]
	v_addc_co_u32_e32 v17, vcc, 0, v3, vcc
	global_store_dwordx4 v[16:17], v[74:77], off offset:2112
	v_add_co_u32_e32 v16, vcc, s27, v2
	s_movk_i32 s1, 0x7000
	s_nop 0
	v_addc_co_u32_e32 v17, vcc, 0, v3, vcc
	global_store_dwordx4 v[16:17], v[70:73], off offset:2816
	v_add_co_u32_e32 v16, vcc, s26, v2
	v_add_f64 v[28:29], v[158:159], -v[162:163]
	s_nop 0
	v_addc_co_u32_e32 v17, vcc, 0, v3, vcc
	global_store_dwordx4 v[16:17], v[66:69], off offset:3520
	v_add_co_u32_e32 v16, vcc, s1, v2
	s_mov_b32 s1, 0x8000
	s_nop 0
	v_addc_co_u32_e32 v17, vcc, 0, v3, vcc
	global_store_dwordx4 v[16:17], v[30:33], off offset:128
	v_add_co_u32_e32 v16, vcc, s1, v2
	v_add_f64 v[26:27], v[146:147], -v[154:155]
	s_nop 0
	v_addc_co_u32_e32 v17, vcc, 0, v3, vcc
	s_mov_b32 s1, 0x9000
	global_store_dwordx4 v[16:17], v[26:29], off offset:832
	v_add_co_u32_e32 v16, vcc, s1, v2
	s_mov_b32 s1, 0xa000
	s_nop 0
	v_addc_co_u32_e32 v17, vcc, 0, v3, vcc
	global_store_dwordx4 v[2:3], v[122:125], off
	v_add_co_u32_e32 v2, vcc, s1, v2
	s_movk_i32 s1, 0xbb8
	s_nop 0
	v_addc_co_u32_e32 v3, vcc, 0, v3, vcc
	global_store_dwordx4 v[2:3], v[12:15], off offset:2240
	v_add_u32_e32 v2, 0x64, v184
	v_mul_hi_u32 v3, v2, s0
	v_lshrrev_b32_e32 v3, 5, v3
	v_mul_u32_u24_e32 v12, 0x12c, v3
	v_sub_u32_e32 v2, v2, v12
	v_mad_u32_u24 v174, v3, s1, v2
	v_add_f64 v[24:25], v[160:161], -v[178:179]
	v_add_f64 v[22:23], v[150:151], -v[152:153]
	v_lshl_add_u64 v[2:3], v[174:175], 4, v[0:1]
	global_store_dwordx4 v[16:17], v[22:25], off offset:1536
	global_store_dwordx4 v[2:3], v[126:129], off
	v_add_u32_e32 v2, 0x12c, v174
	v_mov_b32_e32 v3, v175
	v_mul_f64 v[208:209], v[202:203], s[4:5]
	v_lshl_add_u64 v[2:3], v[2:3], 4, v[0:1]
	v_fmac_f64_e32 v[194:195], s[4:5], v[54:55]
	v_fmac_f64_e32 v[208:209], s[12:13], v[198:199]
	global_store_dwordx4 v[2:3], v[110:113], off
	v_add_u32_e32 v2, 0x258, v174
	v_mov_b32_e32 v3, v175
	v_add_f64 v[108:109], v[194:195], v[208:209]
	v_lshl_add_u64 v[2:3], v[2:3], 4, v[0:1]
	v_fmac_f64_e32 v[196:197], s[4:5], v[54:55]
	global_store_dwordx4 v[2:3], v[106:109], off
	v_add_u32_e32 v2, 0x384, v174
	v_mov_b32_e32 v3, v175
	v_add_f64 v[104:105], v[196:197], v[206:207]
	v_add_f64 v[102:103], v[214:215], v[204:205]
	v_lshl_add_u64 v[2:3], v[2:3], 4, v[0:1]
	global_store_dwordx4 v[2:3], v[102:105], off
	v_add_u32_e32 v2, 0x4b0, v174
	v_mov_b32_e32 v3, v175
	v_add_f64 v[98:99], v[212:213], v[188:189]
	v_lshl_add_u64 v[2:3], v[2:3], 4, v[0:1]
	global_store_dwordx4 v[2:3], v[98:101], off
	v_add_u32_e32 v2, 0x5dc, v174
	v_mov_b32_e32 v3, v175
	v_lshl_add_u64 v[2:3], v[2:3], 4, v[0:1]
	global_store_dwordx4 v[2:3], v[94:97], off
	v_add_u32_e32 v2, 0x708, v174
	v_mov_b32_e32 v3, v175
	;; [unrolled: 4-line block ×3, first 2 shown]
	v_add_f64 v[54:55], v[194:195], -v[208:209]
	v_lshl_add_u64 v[2:3], v[2:3], 4, v[0:1]
	global_store_dwordx4 v[2:3], v[52:55], off
	v_add_u32_e32 v2, 0x960, v174
	v_mov_b32_e32 v3, v175
	v_add_f64 v[50:51], v[196:197], -v[206:207]
	v_add_f64 v[48:49], v[214:215], -v[204:205]
	v_lshl_add_u64 v[2:3], v[2:3], 4, v[0:1]
	v_add_u32_e32 v174, 0xa8c, v174
	v_add_f64 v[44:45], v[212:213], -v[188:189]
	global_store_dwordx4 v[2:3], v[48:51], off
	v_lshl_add_u64 v[2:3], v[174:175], 4, v[0:1]
	global_store_dwordx4 v[2:3], v[44:47], off
	v_add_u32_e32 v2, 0xc8, v184
	v_mul_hi_u32 v3, v2, s0
	v_lshrrev_b32_e32 v3, 5, v3
	v_mul_u32_u24_e32 v12, 0x12c, v3
	v_sub_u32_e32 v2, v2, v12
	v_mad_u32_u24 v174, v3, s1, v2
	v_lshl_add_u64 v[2:3], v[174:175], 4, v[0:1]
	global_store_dwordx4 v[2:3], v[90:93], off
	v_add_u32_e32 v2, 0x12c, v174
	v_mov_b32_e32 v3, v175
	v_lshl_add_u64 v[2:3], v[2:3], 4, v[0:1]
	global_store_dwordx4 v[2:3], v[86:89], off
	v_add_u32_e32 v2, 0x258, v174
	v_mov_b32_e32 v3, v175
	;; [unrolled: 4-line block ×8, first 2 shown]
	v_add_u32_e32 v174, 0xa8c, v174
	v_lshl_add_u64 v[2:3], v[2:3], 4, v[0:1]
	v_lshl_add_u64 v[0:1], v[174:175], 4, v[0:1]
	global_store_dwordx4 v[2:3], v[8:11], off
	global_store_dwordx4 v[0:1], v[4:7], off
.LBB0_15:
	s_endpgm
	.section	.rodata,"a",@progbits
	.p2align	6, 0x0
	.amdhsa_kernel fft_rtc_back_len3000_factors_10_3_10_10_wgs_100_tpt_100_halfLds_dp_op_CI_CI_unitstride_sbrr_dirReg
		.amdhsa_group_segment_fixed_size 0
		.amdhsa_private_segment_fixed_size 0
		.amdhsa_kernarg_size 104
		.amdhsa_user_sgpr_count 2
		.amdhsa_user_sgpr_dispatch_ptr 0
		.amdhsa_user_sgpr_queue_ptr 0
		.amdhsa_user_sgpr_kernarg_segment_ptr 1
		.amdhsa_user_sgpr_dispatch_id 0
		.amdhsa_user_sgpr_kernarg_preload_length 0
		.amdhsa_user_sgpr_kernarg_preload_offset 0
		.amdhsa_user_sgpr_private_segment_size 0
		.amdhsa_uses_dynamic_stack 0
		.amdhsa_enable_private_segment 0
		.amdhsa_system_sgpr_workgroup_id_x 1
		.amdhsa_system_sgpr_workgroup_id_y 0
		.amdhsa_system_sgpr_workgroup_id_z 0
		.amdhsa_system_sgpr_workgroup_info 0
		.amdhsa_system_vgpr_workitem_id 0
		.amdhsa_next_free_vgpr 231
		.amdhsa_next_free_sgpr 30
		.amdhsa_accum_offset 232
		.amdhsa_reserve_vcc 1
		.amdhsa_float_round_mode_32 0
		.amdhsa_float_round_mode_16_64 0
		.amdhsa_float_denorm_mode_32 3
		.amdhsa_float_denorm_mode_16_64 3
		.amdhsa_dx10_clamp 1
		.amdhsa_ieee_mode 1
		.amdhsa_fp16_overflow 0
		.amdhsa_tg_split 0
		.amdhsa_exception_fp_ieee_invalid_op 0
		.amdhsa_exception_fp_denorm_src 0
		.amdhsa_exception_fp_ieee_div_zero 0
		.amdhsa_exception_fp_ieee_overflow 0
		.amdhsa_exception_fp_ieee_underflow 0
		.amdhsa_exception_fp_ieee_inexact 0
		.amdhsa_exception_int_div_zero 0
	.end_amdhsa_kernel
	.text
.Lfunc_end0:
	.size	fft_rtc_back_len3000_factors_10_3_10_10_wgs_100_tpt_100_halfLds_dp_op_CI_CI_unitstride_sbrr_dirReg, .Lfunc_end0-fft_rtc_back_len3000_factors_10_3_10_10_wgs_100_tpt_100_halfLds_dp_op_CI_CI_unitstride_sbrr_dirReg
                                        ; -- End function
	.section	.AMDGPU.csdata,"",@progbits
; Kernel info:
; codeLenInByte = 18568
; NumSgprs: 36
; NumVgprs: 231
; NumAgprs: 0
; TotalNumVgprs: 231
; ScratchSize: 0
; MemoryBound: 1
; FloatMode: 240
; IeeeMode: 1
; LDSByteSize: 0 bytes/workgroup (compile time only)
; SGPRBlocks: 4
; VGPRBlocks: 28
; NumSGPRsForWavesPerEU: 36
; NumVGPRsForWavesPerEU: 231
; AccumOffset: 232
; Occupancy: 2
; WaveLimiterHint : 1
; COMPUTE_PGM_RSRC2:SCRATCH_EN: 0
; COMPUTE_PGM_RSRC2:USER_SGPR: 2
; COMPUTE_PGM_RSRC2:TRAP_HANDLER: 0
; COMPUTE_PGM_RSRC2:TGID_X_EN: 1
; COMPUTE_PGM_RSRC2:TGID_Y_EN: 0
; COMPUTE_PGM_RSRC2:TGID_Z_EN: 0
; COMPUTE_PGM_RSRC2:TIDIG_COMP_CNT: 0
; COMPUTE_PGM_RSRC3_GFX90A:ACCUM_OFFSET: 57
; COMPUTE_PGM_RSRC3_GFX90A:TG_SPLIT: 0
	.text
	.p2alignl 6, 3212836864
	.fill 256, 4, 3212836864
	.type	__hip_cuid_358129a23f4cb73b,@object ; @__hip_cuid_358129a23f4cb73b
	.section	.bss,"aw",@nobits
	.globl	__hip_cuid_358129a23f4cb73b
__hip_cuid_358129a23f4cb73b:
	.byte	0                               ; 0x0
	.size	__hip_cuid_358129a23f4cb73b, 1

	.ident	"AMD clang version 19.0.0git (https://github.com/RadeonOpenCompute/llvm-project roc-6.4.0 25133 c7fe45cf4b819c5991fe208aaa96edf142730f1d)"
	.section	".note.GNU-stack","",@progbits
	.addrsig
	.addrsig_sym __hip_cuid_358129a23f4cb73b
	.amdgpu_metadata
---
amdhsa.kernels:
  - .agpr_count:     0
    .args:
      - .actual_access:  read_only
        .address_space:  global
        .offset:         0
        .size:           8
        .value_kind:     global_buffer
      - .offset:         8
        .size:           8
        .value_kind:     by_value
      - .actual_access:  read_only
        .address_space:  global
        .offset:         16
        .size:           8
        .value_kind:     global_buffer
      - .actual_access:  read_only
        .address_space:  global
        .offset:         24
        .size:           8
        .value_kind:     global_buffer
      - .actual_access:  read_only
        .address_space:  global
        .offset:         32
        .size:           8
        .value_kind:     global_buffer
      - .offset:         40
        .size:           8
        .value_kind:     by_value
      - .actual_access:  read_only
        .address_space:  global
        .offset:         48
        .size:           8
        .value_kind:     global_buffer
      - .actual_access:  read_only
        .address_space:  global
        .offset:         56
        .size:           8
        .value_kind:     global_buffer
      - .offset:         64
        .size:           4
        .value_kind:     by_value
      - .actual_access:  read_only
        .address_space:  global
        .offset:         72
        .size:           8
        .value_kind:     global_buffer
      - .actual_access:  read_only
        .address_space:  global
        .offset:         80
        .size:           8
        .value_kind:     global_buffer
      - .actual_access:  read_only
        .address_space:  global
        .offset:         88
        .size:           8
        .value_kind:     global_buffer
      - .actual_access:  write_only
        .address_space:  global
        .offset:         96
        .size:           8
        .value_kind:     global_buffer
    .group_segment_fixed_size: 0
    .kernarg_segment_align: 8
    .kernarg_segment_size: 104
    .language:       OpenCL C
    .language_version:
      - 2
      - 0
    .max_flat_workgroup_size: 100
    .name:           fft_rtc_back_len3000_factors_10_3_10_10_wgs_100_tpt_100_halfLds_dp_op_CI_CI_unitstride_sbrr_dirReg
    .private_segment_fixed_size: 0
    .sgpr_count:     36
    .sgpr_spill_count: 0
    .symbol:         fft_rtc_back_len3000_factors_10_3_10_10_wgs_100_tpt_100_halfLds_dp_op_CI_CI_unitstride_sbrr_dirReg.kd
    .uniform_work_group_size: 1
    .uses_dynamic_stack: false
    .vgpr_count:     231
    .vgpr_spill_count: 0
    .wavefront_size: 64
amdhsa.target:   amdgcn-amd-amdhsa--gfx950
amdhsa.version:
  - 1
  - 2
...

	.end_amdgpu_metadata
